;; amdgpu-corpus repo=ROCm/rocFFT kind=compiled arch=gfx906 opt=O3
	.text
	.amdgcn_target "amdgcn-amd-amdhsa--gfx906"
	.amdhsa_code_object_version 6
	.protected	bluestein_single_fwd_len1575_dim1_dp_op_CI_CI ; -- Begin function bluestein_single_fwd_len1575_dim1_dp_op_CI_CI
	.globl	bluestein_single_fwd_len1575_dim1_dp_op_CI_CI
	.p2align	8
	.type	bluestein_single_fwd_len1575_dim1_dp_op_CI_CI,@function
bluestein_single_fwd_len1575_dim1_dp_op_CI_CI: ; @bluestein_single_fwd_len1575_dim1_dp_op_CI_CI
; %bb.0:
	s_load_dwordx4 s[12:15], s[4:5], 0x28
	s_mov_b64 s[42:43], s[2:3]
	v_mul_u32_u24_e32 v1, 0x411, v0
	s_mov_b64 s[40:41], s[0:1]
	v_add_u32_sdwa v4, s6, v1 dst_sel:DWORD dst_unused:UNUSED_PAD src0_sel:DWORD src1_sel:WORD_1
	v_mov_b32_e32 v5, 0
	s_add_u32 s40, s40, s7
	s_waitcnt lgkmcnt(0)
	v_cmp_gt_u64_e32 vcc, s[12:13], v[4:5]
	s_addc_u32 s41, s41, 0
	s_and_saveexec_b64 s[0:1], vcc
	s_cbranch_execz .LBB0_31
; %bb.1:
	s_load_dwordx4 s[0:3], s[4:5], 0x18
	s_load_dwordx2 s[16:17], s[4:5], 0x0
	v_mov_b32_e32 v2, 63
	v_mul_lo_u16_sdwa v1, v1, v2 dst_sel:DWORD dst_unused:UNUSED_PAD src0_sel:WORD_1 src1_sel:DWORD
	v_sub_u16_e32 v193, v0, v1
	s_waitcnt lgkmcnt(0)
	s_load_dwordx4 s[8:11], s[0:1], 0x0
	v_mov_b32_e32 v5, v4
	buffer_store_dword v5, off, s[40:43], 0 offset:24 ; 4-byte Folded Spill
	s_nop 0
	buffer_store_dword v6, off, s[40:43], 0 offset:28 ; 4-byte Folded Spill
	v_lshlrev_b32_e32 v212, 4, v193
	v_add_co_u32_e64 v70, s[6:7], s16, v212
	s_waitcnt lgkmcnt(0)
	v_mad_u64_u32 v[0:1], s[0:1], s10, v4, 0
	v_mad_u64_u32 v[2:3], s[0:1], s8, v193, 0
	;; [unrolled: 1-line block ×4, first 2 shown]
	v_mov_b32_e32 v1, v4
	v_lshlrev_b64 v[0:1], 4, v[0:1]
	v_mov_b32_e32 v6, s15
	v_mov_b32_e32 v3, v5
	v_add_co_u32_e32 v4, vcc, s14, v0
	v_addc_co_u32_e32 v5, vcc, v6, v1, vcc
	v_lshlrev_b64 v[0:1], 4, v[2:3]
	s_mul_i32 s0, s9, 0x20d
	s_mul_hi_u32 s1, s8, 0x20d
	v_add_co_u32_e32 v0, vcc, v4, v0
	v_mov_b32_e32 v2, s17
	s_add_i32 s1, s1, s0
	s_mul_i32 s0, s8, 0x20d
	v_addc_co_u32_e32 v1, vcc, v5, v1, vcc
	v_addc_co_u32_e64 v71, vcc, 0, v2, s[6:7]
	s_lshl_b64 s[14:15], s[0:1], 4
	v_mov_b32_e32 v15, s15
	v_add_co_u32_e32 v2, vcc, s14, v0
	v_addc_co_u32_e32 v3, vcc, v1, v15, vcc
	s_movk_i32 s0, 0x2000
	v_add_co_u32_e32 v36, vcc, s0, v70
	v_addc_co_u32_e32 v37, vcc, 0, v71, vcc
	global_load_dwordx4 v[16:19], v[0:1], off
	global_load_dwordx4 v[20:23], v[2:3], off
	v_add_co_u32_e32 v0, vcc, s14, v2
	v_addc_co_u32_e32 v1, vcc, v3, v15, vcc
	s_movk_i32 s0, 0x4000
	v_add_co_u32_e32 v12, vcc, s0, v70
	global_load_dwordx4 v[56:59], v[36:37], off offset:208
	v_addc_co_u32_e32 v13, vcc, 0, v71, vcc
	global_load_dwordx4 v[60:63], v[12:13], off offset:416
	global_load_dwordx4 v[24:27], v[0:1], off
	s_mul_hi_u32 s1, s8, 0xfffffc25
	global_load_dwordx4 v[72:75], v212, s[16:17]
	global_load_dwordx4 v[64:67], v212, s[16:17] offset:1008
	s_mul_i32 s0, s9, 0xfffffc25
	s_sub_i32 s1, s1, s8
	s_add_i32 s1, s1, s0
	s_mul_i32 s0, s8, 0xfffffc25
	s_lshl_b64 s[18:19], s[0:1], 4
	v_mov_b32_e32 v14, s19
	v_add_co_u32_e32 v4, vcc, s18, v0
	v_addc_co_u32_e32 v5, vcc, v1, v14, vcc
	v_add_co_u32_e32 v6, vcc, s14, v4
	v_addc_co_u32_e32 v7, vcc, v5, v15, vcc
	global_load_dwordx4 v[28:31], v[4:5], off
	global_load_dwordx4 v[0:3], v[6:7], off
	global_load_dwordx4 v[168:171], v[36:37], off offset:1216
	v_add_co_u32_e32 v8, vcc, s14, v6
	v_addc_co_u32_e32 v9, vcc, v7, v15, vcc
	v_add_co_u32_e32 v32, vcc, s18, v8
	v_addc_co_u32_e32 v33, vcc, v9, v14, vcc
	v_add_co_u32_e32 v38, vcc, s14, v32
	global_load_dwordx4 v[4:7], v[8:9], off
	global_load_dwordx4 v[164:167], v[12:13], off offset:1424
	s_nop 0
	global_load_dwordx4 v[8:11], v[32:33], off
	global_load_dwordx4 v[124:127], v212, s[16:17] offset:2016
	v_addc_co_u32_e32 v39, vcc, v33, v15, vcc
	global_load_dwordx4 v[116:119], v[36:37], off offset:2224
	global_load_dwordx4 v[32:35], v[38:39], off
	s_load_dwordx2 s[12:13], s[4:5], 0x38
	s_load_dwordx4 s[8:11], s[2:3], 0x0
	s_movk_i32 s0, 0x3000
	s_waitcnt vmcnt(13)
	v_mul_f64 v[44:45], v[22:23], v[58:59]
	v_mul_f64 v[46:47], v[20:21], v[58:59]
	s_waitcnt vmcnt(11)
	v_mul_f64 v[48:49], v[26:27], v[62:63]
	s_waitcnt vmcnt(10)
	v_mul_f64 v[40:41], v[18:19], v[74:75]
	v_mul_f64 v[42:43], v[16:17], v[74:75]
	;; [unrolled: 1-line block ×3, first 2 shown]
	v_fma_f64 v[20:21], v[20:21], v[56:57], v[44:45]
	v_fma_f64 v[24:25], v[24:25], v[60:61], v[48:49]
	;; [unrolled: 1-line block ×3, first 2 shown]
	buffer_store_dword v72, off, s[40:43], 0 offset:404 ; 4-byte Folded Spill
	s_nop 0
	buffer_store_dword v73, off, s[40:43], 0 offset:408 ; 4-byte Folded Spill
	buffer_store_dword v74, off, s[40:43], 0 offset:412 ; 4-byte Folded Spill
	buffer_store_dword v75, off, s[40:43], 0 offset:416 ; 4-byte Folded Spill
	buffer_store_dword v56, off, s[40:43], 0 offset:68 ; 4-byte Folded Spill
	s_nop 0
	buffer_store_dword v57, off, s[40:43], 0 offset:72 ; 4-byte Folded Spill
	buffer_store_dword v58, off, s[40:43], 0 offset:76 ; 4-byte Folded Spill
	buffer_store_dword v59, off, s[40:43], 0 offset:80 ; 4-byte Folded Spill
	;; [unrolled: 5-line block ×3, first 2 shown]
	v_add_co_u32_e32 v40, vcc, s14, v38
	s_waitcnt vmcnt(20)
	v_mul_f64 v[52:53], v[30:31], v[66:67]
	v_mul_f64 v[54:55], v[28:29], v[66:67]
	v_addc_co_u32_e32 v41, vcc, v39, v15, vcc
	v_add_co_u32_e32 v44, vcc, s18, v40
	v_addc_co_u32_e32 v45, vcc, v41, v14, vcc
	v_fma_f64 v[28:29], v[28:29], v[64:65], v[52:53]
	buffer_store_dword v64, off, s[40:43], 0 offset:244 ; 4-byte Folded Spill
	s_nop 0
	buffer_store_dword v65, off, s[40:43], 0 offset:248 ; 4-byte Folded Spill
	buffer_store_dword v66, off, s[40:43], 0 offset:252 ; 4-byte Folded Spill
	;; [unrolled: 1-line block ×3, first 2 shown]
	v_add_co_u32_e32 v48, vcc, s14, v44
	v_addc_co_u32_e32 v49, vcc, v45, v15, vcc
	v_add_co_u32_e32 v52, vcc, s14, v48
	v_addc_co_u32_e32 v53, vcc, v49, v15, vcc
	s_waitcnt vmcnt(22)
	v_mul_f64 v[100:101], v[2:3], v[170:171]
	s_waitcnt vmcnt(20)
	v_mul_f64 v[104:105], v[6:7], v[166:167]
	;; [unrolled: 2-line block ×4, first 2 shown]
	global_load_dwordx4 v[152:155], v212, s[16:17] offset:3024
	global_load_dwordx4 v[172:175], v[36:37], off offset:3232
	v_mul_f64 v[102:103], v[0:1], v[170:171]
	global_load_dwordx4 v[36:39], v[40:41], off
	v_fma_f64 v[0:1], v[0:1], v[168:169], v[100:101]
	v_mul_f64 v[106:107], v[4:5], v[166:167]
	v_fma_f64 v[4:5], v[4:5], v[164:165], v[104:105]
	v_mul_f64 v[110:111], v[8:9], v[126:127]
	v_fma_f64 v[8:9], v[8:9], v[124:125], v[108:109]
	v_fma_f64 v[18:19], v[18:19], v[72:73], -v[42:43]
	v_fma_f64 v[22:23], v[22:23], v[56:57], -v[46:47]
	v_add_co_u32_e32 v56, vcc, s18, v52
	v_addc_co_u32_e32 v57, vcc, v53, v14, vcc
	v_fma_f64 v[26:27], v[26:27], v[60:61], -v[50:51]
	v_add_co_u32_e32 v60, vcc, s14, v56
	v_addc_co_u32_e32 v61, vcc, v57, v15, vcc
	v_add_co_u32_e32 v96, vcc, s0, v70
	v_addc_co_u32_e32 v97, vcc, 0, v71, vcc
	v_fma_f64 v[30:31], v[30:31], v[64:65], -v[54:55]
	v_add_co_u32_e32 v64, vcc, s14, v60
	v_addc_co_u32_e32 v65, vcc, v61, v15, vcc
	s_movk_i32 s0, 0x5000
	v_add_co_u32_e32 v114, vcc, s0, v70
	v_addc_co_u32_e32 v115, vcc, 0, v71, vcc
	v_add_co_u32_e32 v68, vcc, s18, v64
	v_addc_co_u32_e32 v69, vcc, v65, v14, vcc
	s_movk_i32 s0, 0x1000
	v_add_co_u32_e32 v92, vcc, s0, v70
	v_addc_co_u32_e32 v93, vcc, 0, v71, vcc
	v_add_co_u32_e32 v72, vcc, s14, v68
	v_addc_co_u32_e32 v73, vcc, v69, v15, vcc
	;; [unrolled: 2-line block ×8, first 2 shown]
	v_add_co_u32_e32 v14, vcc, s14, v98
	global_load_dwordx4 v[40:43], v[44:45], off
	v_addc_co_u32_e32 v15, vcc, v99, v15, vcc
	global_load_dwordx4 v[44:47], v[48:49], off
	s_nop 0
	global_load_dwordx4 v[48:51], v[52:53], off
	global_load_dwordx4 v[194:197], v[12:13], off offset:2432
	global_load_dwordx4 v[184:187], v[12:13], off offset:3440
	s_nop 0
	global_load_dwordx4 v[52:55], v[56:57], off
	global_load_dwordx4 v[136:139], v212, s[16:17] offset:4032
	global_load_dwordx4 v[140:143], v[114:115], off offset:352
	global_load_dwordx4 v[156:159], v[92:93], off offset:944
	v_cmp_gt_u16_e64 s[0:1], 21, v193
	buffer_store_dword v70, off, s[40:43], 0 ; 4-byte Folded Spill
	buffer_store_dword v71, off, s[40:43], 0 offset:20 ; 4-byte Folded Spill
	global_load_dwordx4 v[56:59], v[60:61], off
	s_nop 0
	global_load_dwordx4 v[60:63], v[64:65], off
	s_nop 0
	global_load_dwordx4 v[64:67], v[68:69], off
	global_load_dwordx4 v[188:191], v[96:97], off offset:144
	s_nop 0
	global_load_dwordx4 v[68:71], v[72:73], off
	global_load_dwordx4 v[180:183], v[96:97], off offset:1152
	;; [unrolled: 3-line block ×9, first 2 shown]
	s_nop 0
	buffer_store_dword v168, off, s[40:43], 0 offset:292 ; 4-byte Folded Spill
	s_nop 0
	buffer_store_dword v169, off, s[40:43], 0 offset:296 ; 4-byte Folded Spill
	buffer_store_dword v170, off, s[40:43], 0 offset:300 ; 4-byte Folded Spill
	buffer_store_dword v171, off, s[40:43], 0 offset:304 ; 4-byte Folded Spill
	buffer_store_dword v164, off, s[40:43], 0 offset:276 ; 4-byte Folded Spill
	s_nop 0
	buffer_store_dword v165, off, s[40:43], 0 offset:280 ; 4-byte Folded Spill
	buffer_store_dword v166, off, s[40:43], 0 offset:284 ; 4-byte Folded Spill
	buffer_store_dword v167, off, s[40:43], 0 offset:288 ; 4-byte Folded Spill
	;; [unrolled: 5-line block ×3, first 2 shown]
	v_mul_f64 v[114:115], v[32:33], v[118:119]
	v_fma_f64 v[32:33], v[32:33], v[116:117], v[112:113]
	buffer_store_dword v116, off, s[40:43], 0 offset:36 ; 4-byte Folded Spill
	s_nop 0
	buffer_store_dword v117, off, s[40:43], 0 offset:40 ; 4-byte Folded Spill
	buffer_store_dword v118, off, s[40:43], 0 offset:44 ; 4-byte Folded Spill
	;; [unrolled: 1-line block ×3, first 2 shown]
	v_fma_f64 v[2:3], v[2:3], v[168:169], -v[102:103]
	v_fma_f64 v[6:7], v[6:7], v[164:165], -v[106:107]
	;; [unrolled: 1-line block ×4, first 2 shown]
	ds_write_b128 v212, v[16:19]
	ds_write_b128 v212, v[20:23] offset:8400
	ds_write_b128 v212, v[24:27] offset:16800
	;; [unrolled: 1-line block ×7, first 2 shown]
	s_waitcnt vmcnt(43)
	v_mul_f64 v[0:1], v[38:39], v[196:197]
	v_mul_f64 v[4:5], v[42:43], v[154:155]
	;; [unrolled: 1-line block ×3, first 2 shown]
	s_waitcnt vmcnt(42)
	v_mul_f64 v[16:17], v[50:51], v[186:187]
	s_waitcnt vmcnt(40)
	v_mul_f64 v[20:21], v[54:55], v[138:139]
	;; [unrolled: 2-line block ×3, first 2 shown]
	v_mul_f64 v[28:29], v[62:63], v[142:143]
	v_mul_f64 v[32:33], v[66:67], v[158:159]
	v_mul_f64 v[2:3], v[36:37], v[196:197]
	v_fma_f64 v[0:1], v[36:37], v[194:195], v[0:1]
	buffer_store_dword v194, off, s[40:43], 0 offset:388 ; 4-byte Folded Spill
	s_nop 0
	buffer_store_dword v195, off, s[40:43], 0 offset:392 ; 4-byte Folded Spill
	buffer_store_dword v196, off, s[40:43], 0 offset:396 ; 4-byte Folded Spill
	buffer_store_dword v197, off, s[40:43], 0 offset:400 ; 4-byte Folded Spill
	v_mul_f64 v[6:7], v[40:41], v[154:155]
	v_fma_f64 v[4:5], v[40:41], v[152:153], v[4:5]
	buffer_store_dword v152, off, s[40:43], 0 offset:212 ; 4-byte Folded Spill
	s_nop 0
	buffer_store_dword v153, off, s[40:43], 0 offset:216 ; 4-byte Folded Spill
	buffer_store_dword v154, off, s[40:43], 0 offset:220 ; 4-byte Folded Spill
	buffer_store_dword v155, off, s[40:43], 0 offset:224 ; 4-byte Folded Spill
	v_mul_f64 v[10:11], v[44:45], v[174:175]
	;; [unrolled: 7-line block ×7, first 2 shown]
	v_fma_f64 v[32:33], v[64:65], v[156:157], v[32:33]
	buffer_store_dword v156, off, s[40:43], 0 offset:228 ; 4-byte Folded Spill
	s_nop 0
	buffer_store_dword v157, off, s[40:43], 0 offset:232 ; 4-byte Folded Spill
	buffer_store_dword v158, off, s[40:43], 0 offset:236 ; 4-byte Folded Spill
	;; [unrolled: 1-line block ×3, first 2 shown]
	v_fma_f64 v[2:3], v[38:39], v[194:195], -v[2:3]
	v_fma_f64 v[6:7], v[42:43], v[152:153], -v[6:7]
	;; [unrolled: 1-line block ×8, first 2 shown]
	ds_write_b128 v212, v[0:3] offset:18816
	ds_write_b128 v212, v[4:7] offset:3024
	;; [unrolled: 1-line block ×8, first 2 shown]
	s_waitcnt vmcnt(62)
	v_mul_f64 v[0:1], v[70:71], v[182:183]
	s_waitcnt vmcnt(60)
	v_mul_f64 v[4:5], v[74:75], v[178:179]
	;; [unrolled: 2-line block ×8, first 2 shown]
	v_mul_f64 v[2:3], v[68:69], v[182:183]
	v_fma_f64 v[0:1], v[68:69], v[180:181], v[0:1]
	buffer_store_dword v180, off, s[40:43], 0 offset:340 ; 4-byte Folded Spill
	s_nop 0
	buffer_store_dword v181, off, s[40:43], 0 offset:344 ; 4-byte Folded Spill
	buffer_store_dword v182, off, s[40:43], 0 offset:348 ; 4-byte Folded Spill
	buffer_store_dword v183, off, s[40:43], 0 offset:352 ; 4-byte Folded Spill
	v_mul_f64 v[6:7], v[72:73], v[178:179]
	v_fma_f64 v[4:5], v[72:73], v[176:177], v[4:5]
	buffer_store_dword v176, off, s[40:43], 0 offset:324 ; 4-byte Folded Spill
	s_nop 0
	buffer_store_dword v177, off, s[40:43], 0 offset:328 ; 4-byte Folded Spill
	buffer_store_dword v178, off, s[40:43], 0 offset:332 ; 4-byte Folded Spill
	buffer_store_dword v179, off, s[40:43], 0 offset:336 ; 4-byte Folded Spill
	;; [unrolled: 7-line block ×8, first 2 shown]
	v_fma_f64 v[2:3], v[70:71], v[180:181], -v[2:3]
	v_fma_f64 v[6:7], v[74:75], v[176:177], -v[6:7]
	;; [unrolled: 1-line block ×8, first 2 shown]
	ds_write_b128 v212, v[0:3] offset:13440
	ds_write_b128 v212, v[4:7] offset:21840
	;; [unrolled: 1-line block ×8, first 2 shown]
	s_and_saveexec_b64 s[2:3], s[0:1]
	s_cbranch_execz .LBB0_3
; %bb.2:
	buffer_load_dword v21, off, s[40:43], 0 ; 4-byte Folded Reload
	buffer_load_dword v22, off, s[40:43], 0 offset:20 ; 4-byte Folded Reload
	v_mov_b32_e32 v0, s19
	v_add_co_u32_e32 v8, vcc, s18, v14
	v_addc_co_u32_e32 v9, vcc, v15, v0, vcc
	v_mov_b32_e32 v20, s15
	global_load_dwordx4 v[0:3], v[8:9], off
	s_waitcnt vmcnt(2)
	v_add_co_u32_e32 v4, vcc, 0x1000, v21
	s_waitcnt vmcnt(1)
	v_addc_co_u32_e32 v5, vcc, 0, v22, vcc
	v_add_co_u32_e32 v18, vcc, s14, v8
	v_addc_co_u32_e32 v19, vcc, v9, v20, vcc
	global_load_dwordx4 v[4:7], v[4:5], off offset:3968
	s_nop 0
	global_load_dwordx4 v[8:11], v[18:19], off
	global_load_dwordx4 v[14:17], v[12:13], off offset:80
	v_add_co_u32_e32 v12, vcc, s14, v18
	v_addc_co_u32_e32 v13, vcc, v19, v20, vcc
	s_movk_i32 s14, 0x6000
	v_add_co_u32_e32 v18, vcc, s14, v21
	v_addc_co_u32_e32 v19, vcc, 0, v22, vcc
	global_load_dwordx4 v[18:21], v[18:19], off offset:288
	s_nop 0
	global_load_dwordx4 v[22:25], v[12:13], off
	s_waitcnt vmcnt(4)
	v_mul_f64 v[12:13], v[2:3], v[6:7]
	v_mul_f64 v[6:7], v[0:1], v[6:7]
	s_waitcnt vmcnt(2)
	v_mul_f64 v[26:27], v[10:11], v[16:17]
	v_mul_f64 v[16:17], v[8:9], v[16:17]
	v_fma_f64 v[0:1], v[0:1], v[4:5], v[12:13]
	v_fma_f64 v[2:3], v[2:3], v[4:5], -v[6:7]
	v_fma_f64 v[4:5], v[8:9], v[14:15], v[26:27]
	s_waitcnt vmcnt(0)
	v_mul_f64 v[28:29], v[24:25], v[20:21]
	v_mul_f64 v[20:21], v[22:23], v[20:21]
	v_fma_f64 v[6:7], v[10:11], v[14:15], -v[16:17]
	v_fma_f64 v[8:9], v[22:23], v[18:19], v[28:29]
	v_fma_f64 v[10:11], v[24:25], v[18:19], -v[20:21]
	ds_write_b128 v212, v[0:3] offset:8064
	ds_write_b128 v212, v[4:7] offset:16464
	;; [unrolled: 1-line block ×3, first 2 shown]
.LBB0_3:
	s_or_b64 exec, exec, s[2:3]
	s_waitcnt lgkmcnt(0)
	; wave barrier
	s_waitcnt lgkmcnt(0)
	ds_read_b128 v[96:99], v212
	ds_read_b128 v[88:91], v212 offset:1008
	ds_read_b128 v[104:107], v212 offset:8400
	;; [unrolled: 1-line block ×23, first 2 shown]
                                        ; implicit-def: $vgpr8_vgpr9
                                        ; implicit-def: $vgpr16_vgpr17
                                        ; implicit-def: $vgpr20_vgpr21
	s_and_saveexec_b64 s[2:3], s[0:1]
	s_cbranch_execz .LBB0_5
; %bb.4:
	ds_read_b128 v[8:11], v212 offset:8064
	ds_read_b128 v[16:19], v212 offset:16464
	;; [unrolled: 1-line block ×3, first 2 shown]
.LBB0_5:
	s_or_b64 exec, exec, s[2:3]
	s_waitcnt lgkmcnt(14)
	v_add_f64 v[108:109], v[104:105], v[100:101]
	s_movk_i32 s2, 0x7e
	v_add_co_u32_e32 v210, vcc, s2, v193
	s_movk_i32 s2, 0xbd
	v_add_f64 v[110:111], v[96:97], v[104:105]
	v_add_f64 v[114:115], v[106:107], -v[102:103]
	v_add_f64 v[116:117], v[106:107], v[102:103]
	v_fma_f64 v[112:113], v[108:109], -0.5, v[96:97]
	v_add_f64 v[106:107], v[98:99], v[106:107]
	v_add_co_u32_e32 v214, vcc, s2, v193
	s_movk_i32 s2, 0xfc
	v_add_co_u32_e32 v215, vcc, s2, v193
	s_movk_i32 s2, 0x13b
	;; [unrolled: 2-line block ×5, first 2 shown]
	v_add_co_u32_e32 v134, vcc, s2, v193
	s_mov_b32 s2, 0xe8584caa
	s_mov_b32 s3, 0x3febb67a
	s_mov_b32 s15, 0xbfebb67a
	s_mov_b32 s14, s2
	v_add_f64 v[96:97], v[110:111], v[100:101]
	v_fma_f64 v[108:109], v[114:115], s[2:3], v[112:113]
	v_add_f64 v[110:111], v[92:93], v[84:85]
	v_fma_f64 v[116:117], v[116:117], -0.5, v[98:99]
	v_add_f64 v[104:105], v[104:105], -v[100:101]
	v_fma_f64 v[100:101], v[114:115], s[14:15], v[112:113]
	v_add_f64 v[112:113], v[88:89], v[92:93]
	v_add_f64 v[98:99], v[106:107], v[102:103]
	;; [unrolled: 1-line block ×3, first 2 shown]
	v_add_f64 v[118:119], v[94:95], -v[86:87]
	v_fma_f64 v[114:115], v[110:111], -0.5, v[88:89]
	v_add_f64 v[94:95], v[90:91], v[94:95]
	v_fma_f64 v[110:111], v[104:105], s[14:15], v[116:117]
	v_fma_f64 v[102:103], v[104:105], s[2:3], v[116:117]
	v_add_f64 v[88:89], v[112:113], v[84:85]
	s_waitcnt lgkmcnt(13)
	v_add_f64 v[104:105], v[80:81], v[76:77]
	v_fma_f64 v[106:107], v[106:107], -0.5, v[90:91]
	v_add_f64 v[112:113], v[92:93], -v[84:85]
	v_fma_f64 v[84:85], v[118:119], s[2:3], v[114:115]
	v_fma_f64 v[92:93], v[118:119], s[14:15], v[114:115]
	v_add_f64 v[114:115], v[72:73], v[80:81]
	v_add_f64 v[90:91], v[94:95], v[86:87]
	;; [unrolled: 1-line block ×3, first 2 shown]
	v_fma_f64 v[104:105], v[104:105], -0.5, v[72:73]
	v_add_f64 v[118:119], v[82:83], -v[78:79]
	v_fma_f64 v[86:87], v[112:113], s[14:15], v[106:107]
	v_fma_f64 v[94:95], v[112:113], s[2:3], v[106:107]
	s_waitcnt lgkmcnt(12)
	v_add_f64 v[106:107], v[68:69], v[60:61]
	v_add_f64 v[82:83], v[74:75], v[82:83]
	;; [unrolled: 1-line block ×3, first 2 shown]
	v_fma_f64 v[112:113], v[116:117], -0.5, v[74:75]
	v_add_f64 v[114:115], v[80:81], -v[76:77]
	v_fma_f64 v[76:77], v[118:119], s[2:3], v[104:105]
	v_fma_f64 v[80:81], v[118:119], s[14:15], v[104:105]
	v_add_f64 v[104:105], v[64:65], v[68:69]
	v_fma_f64 v[106:107], v[106:107], -0.5, v[64:65]
	v_add_f64 v[118:119], v[70:71], -v[62:63]
	v_add_f64 v[74:75], v[82:83], v[78:79]
	v_add_f64 v[116:117], v[70:71], v[62:63]
	v_fma_f64 v[78:79], v[114:115], s[14:15], v[112:113]
	v_fma_f64 v[82:83], v[114:115], s[2:3], v[112:113]
	v_add_f64 v[114:115], v[68:69], -v[60:61]
	v_add_f64 v[64:65], v[104:105], v[60:61]
	s_waitcnt lgkmcnt(7)
	v_add_f64 v[104:105], v[56:57], v[52:53]
	v_fma_f64 v[60:61], v[118:119], s[2:3], v[106:107]
	v_fma_f64 v[68:69], v[118:119], s[14:15], v[106:107]
	v_add_f64 v[106:107], v[48:49], v[56:57]
	v_add_f64 v[70:71], v[66:67], v[70:71]
	v_fma_f64 v[112:113], v[116:117], -0.5, v[66:67]
	v_add_f64 v[116:117], v[58:59], v[54:55]
	v_add_f64 v[118:119], v[58:59], -v[54:55]
	v_fma_f64 v[104:105], v[104:105], -0.5, v[48:49]
	v_add_f64 v[58:59], v[50:51], v[58:59]
	s_waitcnt lgkmcnt(0)
	v_add_f64 v[120:121], v[12:13], v[0:1]
	v_add_f64 v[48:49], v[106:107], v[52:53]
	;; [unrolled: 1-line block ×4, first 2 shown]
	v_fma_f64 v[62:63], v[114:115], s[14:15], v[112:113]
	v_fma_f64 v[70:71], v[114:115], s[2:3], v[112:113]
	v_fma_f64 v[112:113], v[116:117], -0.5, v[50:51]
	v_add_f64 v[114:115], v[56:57], -v[52:53]
	v_fma_f64 v[52:53], v[118:119], s[2:3], v[104:105]
	v_fma_f64 v[56:57], v[118:119], s[14:15], v[104:105]
	v_add_f64 v[104:105], v[36:37], v[44:45]
	v_fma_f64 v[106:107], v[106:107], -0.5, v[36:37]
	v_add_f64 v[118:119], v[46:47], -v[42:43]
	v_add_f64 v[50:51], v[58:59], v[54:55]
	v_add_f64 v[116:117], v[46:47], v[42:43]
	v_fma_f64 v[54:55], v[114:115], s[14:15], v[112:113]
	v_fma_f64 v[58:59], v[114:115], s[2:3], v[112:113]
	v_add_f64 v[114:115], v[44:45], -v[40:41]
	v_add_f64 v[36:37], v[104:105], v[40:41]
	v_add_f64 v[104:105], v[32:33], v[24:25]
	v_fma_f64 v[40:41], v[118:119], s[2:3], v[106:107]
	v_fma_f64 v[44:45], v[118:119], s[14:15], v[106:107]
	v_add_f64 v[106:107], v[34:35], v[26:27]
	v_add_f64 v[46:47], v[38:39], v[46:47]
	v_fma_f64 v[112:113], v[116:117], -0.5, v[38:39]
	v_add_f64 v[116:117], v[28:29], v[32:33]
	v_add_f64 v[118:119], v[34:35], -v[26:27]
	v_fma_f64 v[28:29], v[104:105], -0.5, v[28:29]
	v_add_f64 v[34:35], v[30:31], v[34:35]
	v_add_f64 v[32:33], v[32:33], -v[24:25]
	v_fma_f64 v[30:31], v[106:107], -0.5, v[30:31]
	v_add_f64 v[38:39], v[46:47], v[42:43]
	v_fma_f64 v[42:43], v[114:115], s[14:15], v[112:113]
	v_fma_f64 v[46:47], v[114:115], s[2:3], v[112:113]
	v_add_f64 v[24:25], v[116:117], v[24:25]
	v_fma_f64 v[104:105], v[118:119], s[2:3], v[28:29]
	v_add_f64 v[116:117], v[4:5], v[12:13]
	v_fma_f64 v[112:113], v[118:119], s[14:15], v[28:29]
	v_fma_f64 v[106:107], v[32:33], s[14:15], v[30:31]
	v_add_f64 v[28:29], v[14:15], v[2:3]
	v_fma_f64 v[114:115], v[32:33], s[2:3], v[30:31]
	v_add_f64 v[30:31], v[16:17], v[20:21]
	v_fma_f64 v[120:121], v[120:121], -0.5, v[4:5]
	v_add_f64 v[122:123], v[14:15], -v[2:3]
	v_add_f64 v[4:5], v[116:117], v[0:1]
	v_add_f64 v[32:33], v[18:19], v[22:23]
	v_add_f64 v[0:1], v[12:13], -v[0:1]
	v_fma_f64 v[28:29], v[28:29], -0.5, v[6:7]
	v_add_f64 v[12:13], v[8:9], v[16:17]
	v_fma_f64 v[8:9], v[30:31], -0.5, v[8:9]
	v_add_f64 v[30:31], v[18:19], -v[22:23]
	v_fma_f64 v[116:117], v[122:123], s[2:3], v[120:121]
	v_fma_f64 v[120:121], v[122:123], s[14:15], v[120:121]
	v_add_f64 v[14:15], v[6:7], v[14:15]
	v_add_f64 v[18:19], v[10:11], v[18:19]
	v_fma_f64 v[10:11], v[32:33], -0.5, v[10:11]
	v_fma_f64 v[118:119], v[0:1], s[14:15], v[28:29]
	v_fma_f64 v[122:123], v[0:1], s[2:3], v[28:29]
	;; [unrolled: 1-line block ×4, first 2 shown]
	v_mul_lo_u16_e32 v8, 3, v193
	v_add_co_u32_e32 v194, vcc, 63, v193
	v_add_f64 v[16:17], v[16:17], -v[20:21]
	v_lshlrev_b32_e32 v8, 4, v8
	s_waitcnt lgkmcnt(0)
	; wave barrier
	ds_write_b128 v8, v[96:99]
	ds_write_b128 v8, v[108:111] offset:16
	buffer_store_dword v8, off, s[40:43], 0 offset:420 ; 4-byte Folded Spill
	ds_write_b128 v8, v[100:103] offset:32
	v_mul_u32_u24_e32 v8, 3, v194
	v_lshlrev_b32_e32 v8, 4, v8
	ds_write_b128 v8, v[88:91]
	ds_write_b128 v8, v[84:87] offset:16
	buffer_store_dword v8, off, s[40:43], 0 offset:424 ; 4-byte Folded Spill
	ds_write_b128 v8, v[92:95] offset:32
	v_mul_u32_u24_e32 v8, 3, v210
	v_lshlrev_b32_e32 v8, 4, v8
	v_add_f64 v[26:27], v[34:35], v[26:27]
	ds_write_b128 v8, v[72:75]
	ds_write_b128 v8, v[76:79] offset:16
	buffer_store_dword v8, off, s[40:43], 0 offset:428 ; 4-byte Folded Spill
	ds_write_b128 v8, v[80:83] offset:32
	v_mul_u32_u24_e32 v8, 3, v214
	v_lshlrev_b32_e32 v8, 4, v8
	v_add_f64 v[6:7], v[14:15], v[2:3]
	ds_write_b128 v8, v[64:67]
	ds_write_b128 v8, v[60:63] offset:16
	buffer_store_dword v8, off, s[40:43], 0 offset:432 ; 4-byte Folded Spill
	ds_write_b128 v8, v[68:71] offset:32
	v_mul_u32_u24_e32 v8, 3, v215
	v_add_f64 v[0:1], v[12:13], v[20:21]
	v_add_f64 v[2:3], v[18:19], v[22:23]
	v_fma_f64 v[30:31], v[16:17], s[14:15], v[10:11]
	v_fma_f64 v[34:35], v[16:17], s[2:3], v[10:11]
	v_lshlrev_b32_e32 v8, 4, v8
	ds_write_b128 v8, v[48:51]
	ds_write_b128 v8, v[52:55] offset:16
	buffer_store_dword v8, off, s[40:43], 0 offset:436 ; 4-byte Folded Spill
	ds_write_b128 v8, v[56:59] offset:32
	v_mul_u32_u24_e32 v8, 3, v145
	v_lshlrev_b32_e32 v8, 4, v8
	s_load_dwordx2 s[4:5], s[4:5], 0x8
	ds_write_b128 v8, v[36:39]
	ds_write_b128 v8, v[40:43] offset:16
	buffer_store_dword v8, off, s[40:43], 0 offset:440 ; 4-byte Folded Spill
	ds_write_b128 v8, v[44:47] offset:32
	v_mul_u32_u24_e32 v8, 3, v142
	v_lshlrev_b32_e32 v8, 4, v8
	ds_write_b128 v8, v[24:27]
	ds_write_b128 v8, v[104:107] offset:16
	buffer_store_dword v8, off, s[40:43], 0 offset:444 ; 4-byte Folded Spill
	ds_write_b128 v8, v[112:115] offset:32
	v_mul_u32_u24_e32 v8, 3, v139
	v_lshlrev_b32_e32 v8, 4, v8
	ds_write_b128 v8, v[4:7]
	ds_write_b128 v8, v[116:119] offset:16
	v_mul_u32_u24_e32 v4, 3, v134
	buffer_store_dword v8, off, s[40:43], 0 offset:448 ; 4-byte Folded Spill
	ds_write_b128 v8, v[120:123] offset:32
	buffer_store_dword v4, off, s[40:43], 0 offset:1328 ; 4-byte Folded Spill
	s_and_saveexec_b64 s[2:3], s[0:1]
	s_cbranch_execz .LBB0_7
; %bb.6:
	v_mul_u32_u24_e32 v4, 3, v134
	v_lshlrev_b32_e32 v4, 4, v4
	ds_write_b128 v4, v[0:3]
	ds_write_b128 v4, v[28:31] offset:16
	ds_write_b128 v4, v[32:35] offset:32
.LBB0_7:
	s_or_b64 exec, exec, s[2:3]
	s_waitcnt lgkmcnt(0)
	; wave barrier
	s_waitcnt lgkmcnt(0)
	ds_read_b128 v[40:43], v212
	ds_read_b128 v[36:39], v212 offset:1008
	ds_read_b128 v[104:107], v212 offset:8400
	;; [unrolled: 1-line block ×23, first 2 shown]
	s_and_saveexec_b64 s[2:3], s[0:1]
	s_cbranch_execz .LBB0_9
; %bb.8:
	ds_read_b128 v[0:3], v212 offset:8064
	ds_read_b128 v[28:31], v212 offset:16464
	ds_read_b128 v[32:35], v212 offset:24864
.LBB0_9:
	s_or_b64 exec, exec, s[2:3]
	s_movk_i32 s2, 0xab
	v_mul_lo_u16_sdwa v108, v193, s2 dst_sel:DWORD dst_unused:UNUSED_PAD src0_sel:BYTE_0 src1_sel:DWORD
	v_lshrrev_b16_e32 v132, 9, v108
	v_mul_lo_u16_e32 v108, 3, v132
	v_sub_u16_e32 v108, v193, v108
	v_and_b32_e32 v133, 0xff, v108
	v_lshlrev_b32_e32 v108, 5, v133
	global_load_dwordx4 v[110:113], v108, s[4:5] offset:16
	global_load_dwordx4 v[114:117], v108, s[4:5]
	s_waitcnt vmcnt(0) lgkmcnt(14)
	v_mul_f64 v[108:109], v[106:107], v[116:117]
	v_fma_f64 v[124:125], v[104:105], v[114:115], -v[108:109]
	v_mul_f64 v[104:105], v[104:105], v[116:117]
	buffer_store_dword v114, off, s[40:43], 0 offset:468 ; 4-byte Folded Spill
	s_nop 0
	buffer_store_dword v115, off, s[40:43], 0 offset:472 ; 4-byte Folded Spill
	buffer_store_dword v116, off, s[40:43], 0 offset:476 ; 4-byte Folded Spill
	;; [unrolled: 1-line block ×3, first 2 shown]
	v_fma_f64 v[126:127], v[106:107], v[114:115], v[104:105]
	v_mul_f64 v[104:105], v[102:103], v[112:113]
	v_fma_f64 v[128:129], v[100:101], v[110:111], -v[104:105]
	v_mul_f64 v[100:101], v[100:101], v[112:113]
	buffer_store_dword v110, off, s[40:43], 0 offset:452 ; 4-byte Folded Spill
	s_nop 0
	buffer_store_dword v111, off, s[40:43], 0 offset:456 ; 4-byte Folded Spill
	buffer_store_dword v112, off, s[40:43], 0 offset:460 ; 4-byte Folded Spill
	;; [unrolled: 1-line block ×3, first 2 shown]
	v_fma_f64 v[130:131], v[102:103], v[110:111], v[100:101]
	v_mul_lo_u16_sdwa v100, v194, s2 dst_sel:DWORD dst_unused:UNUSED_PAD src0_sel:BYTE_0 src1_sel:DWORD
	v_lshrrev_b16_e32 v135, 9, v100
	v_mul_lo_u16_e32 v100, 3, v135
	v_sub_u16_e32 v100, v194, v100
	v_and_b32_e32 v136, 0xff, v100
	v_lshlrev_b32_e32 v100, 5, v136
	global_load_dwordx4 v[102:105], v100, s[4:5] offset:16
	global_load_dwordx4 v[106:109], v100, s[4:5]
	s_waitcnt vmcnt(0)
	v_mul_f64 v[100:101], v[98:99], v[108:109]
	v_fma_f64 v[116:117], v[96:97], v[106:107], -v[100:101]
	v_mul_f64 v[96:97], v[96:97], v[108:109]
	buffer_store_dword v106, off, s[40:43], 0 offset:500 ; 4-byte Folded Spill
	s_nop 0
	buffer_store_dword v107, off, s[40:43], 0 offset:504 ; 4-byte Folded Spill
	buffer_store_dword v108, off, s[40:43], 0 offset:508 ; 4-byte Folded Spill
	;; [unrolled: 1-line block ×3, first 2 shown]
	v_fma_f64 v[118:119], v[98:99], v[106:107], v[96:97]
	v_mul_f64 v[96:97], v[94:95], v[104:105]
	v_fma_f64 v[120:121], v[92:93], v[102:103], -v[96:97]
	v_mul_f64 v[92:93], v[92:93], v[104:105]
	buffer_store_dword v102, off, s[40:43], 0 offset:484 ; 4-byte Folded Spill
	s_nop 0
	buffer_store_dword v103, off, s[40:43], 0 offset:488 ; 4-byte Folded Spill
	buffer_store_dword v104, off, s[40:43], 0 offset:492 ; 4-byte Folded Spill
	;; [unrolled: 1-line block ×3, first 2 shown]
	v_fma_f64 v[122:123], v[94:95], v[102:103], v[92:93]
	v_mul_lo_u16_sdwa v92, v210, s2 dst_sel:DWORD dst_unused:UNUSED_PAD src0_sel:BYTE_0 src1_sel:DWORD
	v_lshrrev_b16_e32 v137, 9, v92
	v_mul_lo_u16_e32 v92, 3, v137
	v_sub_u16_e32 v92, v210, v92
	v_and_b32_e32 v138, 0xff, v92
	v_lshlrev_b32_e32 v92, 5, v138
	global_load_dwordx4 v[94:97], v92, s[4:5] offset:16
	global_load_dwordx4 v[98:101], v92, s[4:5]
	s_waitcnt vmcnt(0)
	v_mul_f64 v[92:93], v[90:91], v[100:101]
	v_fma_f64 v[108:109], v[88:89], v[98:99], -v[92:93]
	v_mul_f64 v[88:89], v[88:89], v[100:101]
	buffer_store_dword v98, off, s[40:43], 0 offset:532 ; 4-byte Folded Spill
	s_nop 0
	buffer_store_dword v99, off, s[40:43], 0 offset:536 ; 4-byte Folded Spill
	buffer_store_dword v100, off, s[40:43], 0 offset:540 ; 4-byte Folded Spill
	;; [unrolled: 1-line block ×3, first 2 shown]
	v_fma_f64 v[110:111], v[90:91], v[98:99], v[88:89]
	s_waitcnt lgkmcnt(13)
	v_mul_f64 v[88:89], v[86:87], v[96:97]
	v_fma_f64 v[112:113], v[84:85], v[94:95], -v[88:89]
	v_mul_f64 v[84:85], v[84:85], v[96:97]
	buffer_store_dword v94, off, s[40:43], 0 offset:516 ; 4-byte Folded Spill
	s_nop 0
	buffer_store_dword v95, off, s[40:43], 0 offset:520 ; 4-byte Folded Spill
	buffer_store_dword v96, off, s[40:43], 0 offset:524 ; 4-byte Folded Spill
	;; [unrolled: 1-line block ×3, first 2 shown]
	v_fma_f64 v[114:115], v[86:87], v[94:95], v[84:85]
	v_mul_lo_u16_sdwa v84, v214, s2 dst_sel:DWORD dst_unused:UNUSED_PAD src0_sel:BYTE_0 src1_sel:DWORD
	v_lshrrev_b16_e32 v140, 9, v84
	v_mul_lo_u16_e32 v84, 3, v140
	v_sub_u16_e32 v84, v214, v84
	v_and_b32_e32 v141, 0xff, v84
	v_lshlrev_b32_e32 v84, 5, v141
	global_load_dwordx4 v[86:89], v84, s[4:5] offset:16
	global_load_dwordx4 v[90:93], v84, s[4:5]
	s_mov_b32 s2, 0xaaab
	s_waitcnt vmcnt(0)
	v_mul_f64 v[84:85], v[82:83], v[92:93]
	v_fma_f64 v[100:101], v[80:81], v[90:91], -v[84:85]
	v_mul_f64 v[80:81], v[80:81], v[92:93]
	buffer_store_dword v90, off, s[40:43], 0 offset:564 ; 4-byte Folded Spill
	s_nop 0
	buffer_store_dword v91, off, s[40:43], 0 offset:568 ; 4-byte Folded Spill
	buffer_store_dword v92, off, s[40:43], 0 offset:572 ; 4-byte Folded Spill
	;; [unrolled: 1-line block ×3, first 2 shown]
	v_fma_f64 v[102:103], v[82:83], v[90:91], v[80:81]
	s_waitcnt lgkmcnt(12)
	v_mul_f64 v[80:81], v[78:79], v[88:89]
	v_fma_f64 v[104:105], v[76:77], v[86:87], -v[80:81]
	v_mul_f64 v[76:77], v[76:77], v[88:89]
	buffer_store_dword v86, off, s[40:43], 0 offset:548 ; 4-byte Folded Spill
	s_nop 0
	buffer_store_dword v87, off, s[40:43], 0 offset:552 ; 4-byte Folded Spill
	buffer_store_dword v88, off, s[40:43], 0 offset:556 ; 4-byte Folded Spill
	buffer_store_dword v89, off, s[40:43], 0 offset:560 ; 4-byte Folded Spill
	v_fma_f64 v[106:107], v[78:79], v[86:87], v[76:77]
	v_mul_u32_u24_sdwa v76, v215, s2 dst_sel:DWORD dst_unused:UNUSED_PAD src0_sel:WORD_0 src1_sel:DWORD
	v_lshrrev_b32_e32 v143, 17, v76
	v_mul_lo_u16_e32 v76, 3, v143
	v_sub_u16_e32 v144, v215, v76
	v_lshlrev_b16_e32 v76, 1, v144
	v_lshlrev_b32_e32 v76, 4, v76
	global_load_dwordx4 v[78:81], v76, s[4:5] offset:16
	global_load_dwordx4 v[82:85], v76, s[4:5]
	s_waitcnt vmcnt(0) lgkmcnt(9)
	v_mul_f64 v[76:77], v[74:75], v[84:85]
	v_fma_f64 v[92:93], v[72:73], v[82:83], -v[76:77]
	v_mul_f64 v[72:73], v[72:73], v[84:85]
	buffer_store_dword v82, off, s[40:43], 0 offset:596 ; 4-byte Folded Spill
	s_nop 0
	buffer_store_dword v83, off, s[40:43], 0 offset:600 ; 4-byte Folded Spill
	buffer_store_dword v84, off, s[40:43], 0 offset:604 ; 4-byte Folded Spill
	;; [unrolled: 1-line block ×3, first 2 shown]
	v_fma_f64 v[94:95], v[74:75], v[82:83], v[72:73]
	s_waitcnt lgkmcnt(7)
	v_mul_f64 v[72:73], v[70:71], v[80:81]
	v_fma_f64 v[96:97], v[68:69], v[78:79], -v[72:73]
	v_mul_f64 v[68:69], v[68:69], v[80:81]
	buffer_store_dword v78, off, s[40:43], 0 offset:580 ; 4-byte Folded Spill
	s_nop 0
	buffer_store_dword v79, off, s[40:43], 0 offset:584 ; 4-byte Folded Spill
	buffer_store_dword v80, off, s[40:43], 0 offset:588 ; 4-byte Folded Spill
	;; [unrolled: 1-line block ×3, first 2 shown]
	v_fma_f64 v[98:99], v[70:71], v[78:79], v[68:69]
	v_mul_u32_u24_sdwa v68, v145, s2 dst_sel:DWORD dst_unused:UNUSED_PAD src0_sel:WORD_0 src1_sel:DWORD
	v_lshrrev_b32_e32 v146, 17, v68
	v_mul_lo_u16_e32 v68, 3, v146
	v_sub_u16_e32 v145, v145, v68
	v_lshlrev_b16_e32 v68, 1, v145
	v_lshlrev_b32_e32 v68, 4, v68
	global_load_dwordx4 v[70:73], v68, s[4:5] offset:16
	global_load_dwordx4 v[74:77], v68, s[4:5]
	s_waitcnt vmcnt(0)
	v_mul_f64 v[68:69], v[66:67], v[76:77]
	v_fma_f64 v[84:85], v[64:65], v[74:75], -v[68:69]
	v_mul_f64 v[64:65], v[64:65], v[76:77]
	buffer_store_dword v74, off, s[40:43], 0 offset:628 ; 4-byte Folded Spill
	s_nop 0
	buffer_store_dword v75, off, s[40:43], 0 offset:632 ; 4-byte Folded Spill
	buffer_store_dword v76, off, s[40:43], 0 offset:636 ; 4-byte Folded Spill
	;; [unrolled: 1-line block ×3, first 2 shown]
	v_fma_f64 v[86:87], v[66:67], v[74:75], v[64:65]
	s_waitcnt lgkmcnt(6)
	v_mul_f64 v[64:65], v[62:63], v[72:73]
	v_fma_f64 v[88:89], v[60:61], v[70:71], -v[64:65]
	v_mul_f64 v[60:61], v[60:61], v[72:73]
	buffer_store_dword v70, off, s[40:43], 0 offset:612 ; 4-byte Folded Spill
	s_nop 0
	buffer_store_dword v71, off, s[40:43], 0 offset:616 ; 4-byte Folded Spill
	buffer_store_dword v72, off, s[40:43], 0 offset:620 ; 4-byte Folded Spill
	;; [unrolled: 1-line block ×3, first 2 shown]
	v_fma_f64 v[90:91], v[62:63], v[70:71], v[60:61]
	v_mul_u32_u24_sdwa v60, v142, s2 dst_sel:DWORD dst_unused:UNUSED_PAD src0_sel:WORD_0 src1_sel:DWORD
	v_lshrrev_b32_e32 v147, 17, v60
	v_mul_lo_u16_e32 v60, 3, v147
	v_sub_u16_e32 v142, v142, v60
	v_lshlrev_b16_e32 v60, 1, v142
	v_lshlrev_b32_e32 v60, 4, v60
	global_load_dwordx4 v[62:65], v60, s[4:5] offset:16
	global_load_dwordx4 v[66:69], v60, s[4:5]
	s_waitcnt vmcnt(0) lgkmcnt(3)
	v_mul_f64 v[60:61], v[58:59], v[68:69]
	v_fma_f64 v[74:75], v[56:57], v[66:67], -v[60:61]
	v_mul_f64 v[56:57], v[56:57], v[68:69]
	buffer_store_dword v66, off, s[40:43], 0 offset:660 ; 4-byte Folded Spill
	s_nop 0
	buffer_store_dword v67, off, s[40:43], 0 offset:664 ; 4-byte Folded Spill
	buffer_store_dword v68, off, s[40:43], 0 offset:668 ; 4-byte Folded Spill
	;; [unrolled: 1-line block ×3, first 2 shown]
	v_fma_f64 v[80:81], v[58:59], v[66:67], v[56:57]
	s_waitcnt lgkmcnt(1)
	v_mul_f64 v[56:57], v[54:55], v[64:65]
	v_fma_f64 v[78:79], v[52:53], v[62:63], -v[56:57]
	v_mul_f64 v[52:53], v[52:53], v[64:65]
	buffer_store_dword v62, off, s[40:43], 0 offset:644 ; 4-byte Folded Spill
	s_nop 0
	buffer_store_dword v63, off, s[40:43], 0 offset:648 ; 4-byte Folded Spill
	buffer_store_dword v64, off, s[40:43], 0 offset:652 ; 4-byte Folded Spill
	;; [unrolled: 1-line block ×3, first 2 shown]
	v_fma_f64 v[82:83], v[54:55], v[62:63], v[52:53]
	v_mul_u32_u24_sdwa v52, v139, s2 dst_sel:DWORD dst_unused:UNUSED_PAD src0_sel:WORD_0 src1_sel:DWORD
	v_lshrrev_b32_e32 v148, 17, v52
	v_mul_lo_u16_e32 v52, 3, v148
	v_sub_u16_e32 v139, v139, v52
	v_lshlrev_b16_e32 v52, 1, v139
	v_lshlrev_b32_e32 v52, 4, v52
	global_load_dwordx4 v[54:57], v52, s[4:5] offset:16
	global_load_dwordx4 v[58:61], v52, s[4:5]
	s_waitcnt vmcnt(0)
	v_mul_f64 v[52:53], v[50:51], v[60:61]
	v_fma_f64 v[68:69], v[48:49], v[58:59], -v[52:53]
	v_mul_f64 v[48:49], v[48:49], v[60:61]
	buffer_store_dword v58, off, s[40:43], 0 offset:692 ; 4-byte Folded Spill
	s_nop 0
	buffer_store_dword v59, off, s[40:43], 0 offset:696 ; 4-byte Folded Spill
	buffer_store_dword v60, off, s[40:43], 0 offset:700 ; 4-byte Folded Spill
	;; [unrolled: 1-line block ×3, first 2 shown]
	v_fma_f64 v[70:71], v[50:51], v[58:59], v[48:49]
	s_waitcnt lgkmcnt(0)
	v_mul_f64 v[48:49], v[46:47], v[56:57]
	v_add_f64 v[58:59], v[110:111], v[114:115]
	v_fma_f64 v[72:73], v[44:45], v[54:55], -v[48:49]
	v_mul_f64 v[44:45], v[44:45], v[56:57]
	buffer_store_dword v54, off, s[40:43], 0 offset:676 ; 4-byte Folded Spill
	s_nop 0
	buffer_store_dword v55, off, s[40:43], 0 offset:680 ; 4-byte Folded Spill
	buffer_store_dword v56, off, s[40:43], 0 offset:684 ; 4-byte Folded Spill
	;; [unrolled: 1-line block ×3, first 2 shown]
	v_fma_f64 v[76:77], v[46:47], v[54:55], v[44:45]
	v_mul_u32_u24_sdwa v44, v134, s2 dst_sel:DWORD dst_unused:UNUSED_PAD src0_sel:WORD_0 src1_sel:DWORD
	v_lshrrev_b32_e32 v149, 17, v44
	v_mul_lo_u16_e32 v44, 3, v149
	v_sub_u16_e32 v134, v134, v44
	v_lshlrev_b16_e32 v44, 1, v134
	v_lshlrev_b32_e32 v44, 4, v44
	global_load_dwordx4 v[46:49], v44, s[4:5] offset:16
	global_load_dwordx4 v[50:53], v44, s[4:5]
	s_mov_b32 s2, 0xe8584caa
	s_mov_b32 s3, 0x3febb67a
	;; [unrolled: 1-line block ×3, first 2 shown]
	v_add_f64 v[54:55], v[108:109], v[112:113]
	s_waitcnt vmcnt(0)
	v_mul_f64 v[44:45], v[30:31], v[52:53]
	v_fma_f64 v[60:61], v[28:29], v[50:51], -v[44:45]
	v_mul_f64 v[28:29], v[28:29], v[52:53]
	buffer_store_dword v50, off, s[40:43], 0 offset:724 ; 4-byte Folded Spill
	s_nop 0
	buffer_store_dword v51, off, s[40:43], 0 offset:728 ; 4-byte Folded Spill
	buffer_store_dword v52, off, s[40:43], 0 offset:732 ; 4-byte Folded Spill
	;; [unrolled: 1-line block ×3, first 2 shown]
	v_add_f64 v[44:45], v[124:125], -v[128:129]
	v_add_f64 v[52:53], v[116:117], -v[120:121]
	v_fma_f64 v[66:67], v[30:31], v[50:51], v[28:29]
	v_mul_f64 v[28:29], v[34:35], v[48:49]
	v_add_f64 v[30:31], v[124:125], v[128:129]
	v_add_f64 v[50:51], v[118:119], v[122:123]
	v_fma_f64 v[62:63], v[32:33], v[46:47], -v[28:29]
	v_mul_f64 v[28:29], v[32:33], v[48:49]
	buffer_store_dword v46, off, s[40:43], 0 offset:708 ; 4-byte Folded Spill
	s_nop 0
	buffer_store_dword v47, off, s[40:43], 0 offset:712 ; 4-byte Folded Spill
	buffer_store_dword v48, off, s[40:43], 0 offset:716 ; 4-byte Folded Spill
	;; [unrolled: 1-line block ×3, first 2 shown]
	v_fma_f64 v[30:31], v[30:31], -0.5, v[40:41]
	v_add_f64 v[32:33], v[126:127], -v[130:131]
	s_waitcnt lgkmcnt(0)
	; wave barrier
	v_fma_f64 v[64:65], v[34:35], v[46:47], v[28:29]
	v_add_f64 v[34:35], v[126:127], v[130:131]
	v_add_f64 v[46:47], v[116:117], v[120:121]
	;; [unrolled: 1-line block ×3, first 2 shown]
	v_fma_f64 v[40:41], v[32:33], s[2:3], v[30:31]
	v_fma_f64 v[32:33], v[32:33], s[14:15], v[30:31]
	v_add_f64 v[30:31], v[42:43], v[126:127]
	v_fma_f64 v[34:35], v[34:35], -0.5, v[42:43]
	v_add_f64 v[28:29], v[28:29], v[128:129]
	v_add_f64 v[30:31], v[30:31], v[130:131]
	v_fma_f64 v[42:43], v[44:45], s[14:15], v[34:35]
	v_fma_f64 v[34:35], v[44:45], s[2:3], v[34:35]
	v_add_f64 v[44:45], v[36:37], v[116:117]
	v_fma_f64 v[36:37], v[46:47], -0.5, v[36:37]
	v_add_f64 v[46:47], v[118:119], -v[122:123]
	v_add_f64 v[44:45], v[44:45], v[120:121]
	v_fma_f64 v[48:49], v[46:47], s[2:3], v[36:37]
	v_fma_f64 v[36:37], v[46:47], s[14:15], v[36:37]
	v_add_f64 v[46:47], v[38:39], v[118:119]
	v_fma_f64 v[38:39], v[50:51], -0.5, v[38:39]
	v_add_f64 v[46:47], v[46:47], v[122:123]
	v_fma_f64 v[50:51], v[52:53], s[14:15], v[38:39]
	v_fma_f64 v[38:39], v[52:53], s[2:3], v[38:39]
	v_add_f64 v[52:53], v[24:25], v[108:109]
	v_fma_f64 v[24:25], v[54:55], -0.5, v[24:25]
	v_add_f64 v[54:55], v[110:111], -v[114:115]
	v_add_f64 v[108:109], v[108:109], -v[112:113]
	v_add_f64 v[52:53], v[52:53], v[112:113]
	v_add_f64 v[112:113], v[102:103], -v[106:107]
	v_fma_f64 v[56:57], v[54:55], s[2:3], v[24:25]
	v_fma_f64 v[24:25], v[54:55], s[14:15], v[24:25]
	v_add_f64 v[54:55], v[26:27], v[110:111]
	v_add_f64 v[110:111], v[100:101], v[104:105]
	v_fma_f64 v[26:27], v[58:59], -0.5, v[26:27]
	v_add_f64 v[54:55], v[54:55], v[114:115]
	v_fma_f64 v[110:111], v[110:111], -0.5, v[20:21]
	v_fma_f64 v[58:59], v[108:109], s[14:15], v[26:27]
	v_fma_f64 v[26:27], v[108:109], s[2:3], v[26:27]
	v_add_f64 v[108:109], v[20:21], v[100:101]
	v_add_f64 v[100:101], v[100:101], -v[104:105]
	v_fma_f64 v[20:21], v[112:113], s[2:3], v[110:111]
	v_fma_f64 v[112:113], v[112:113], s[14:15], v[110:111]
	v_add_f64 v[110:111], v[22:23], v[102:103]
	v_add_f64 v[102:103], v[102:103], v[106:107]
	;; [unrolled: 1-line block ×3, first 2 shown]
	v_add_f64 v[104:105], v[94:95], -v[98:99]
	v_add_f64 v[110:111], v[110:111], v[106:107]
	v_fma_f64 v[102:103], v[102:103], -0.5, v[22:23]
	v_fma_f64 v[22:23], v[100:101], s[14:15], v[102:103]
	v_fma_f64 v[114:115], v[100:101], s[2:3], v[102:103]
	v_add_f64 v[102:103], v[92:93], v[96:97]
	v_add_f64 v[100:101], v[16:17], v[92:93]
	v_add_f64 v[92:93], v[92:93], -v[96:97]
	v_fma_f64 v[102:103], v[102:103], -0.5, v[16:17]
	v_add_f64 v[100:101], v[100:101], v[96:97]
	v_fma_f64 v[16:17], v[104:105], s[2:3], v[102:103]
	v_fma_f64 v[104:105], v[104:105], s[14:15], v[102:103]
	v_add_f64 v[102:103], v[18:19], v[94:95]
	v_add_f64 v[94:95], v[94:95], v[98:99]
	v_add_f64 v[102:103], v[102:103], v[98:99]
	v_fma_f64 v[94:95], v[94:95], -0.5, v[18:19]
	v_fma_f64 v[18:19], v[92:93], s[14:15], v[94:95]
	v_fma_f64 v[106:107], v[92:93], s[2:3], v[94:95]
	v_add_f64 v[92:93], v[12:13], v[84:85]
	v_add_f64 v[94:95], v[86:87], -v[90:91]
	v_add_f64 v[96:97], v[92:93], v[88:89]
	v_add_f64 v[92:93], v[84:85], v[88:89]
	v_add_f64 v[84:85], v[84:85], -v[88:89]
	v_add_f64 v[88:89], v[80:81], -v[82:83]
	v_fma_f64 v[92:93], v[92:93], -0.5, v[12:13]
	v_fma_f64 v[12:13], v[94:95], s[2:3], v[92:93]
	v_fma_f64 v[116:117], v[94:95], s[14:15], v[92:93]
	v_add_f64 v[92:93], v[14:15], v[86:87]
	v_add_f64 v[86:87], v[86:87], v[90:91]
	;; [unrolled: 1-line block ×3, first 2 shown]
	v_fma_f64 v[86:87], v[86:87], -0.5, v[14:15]
	v_fma_f64 v[14:15], v[84:85], s[14:15], v[86:87]
	v_fma_f64 v[118:119], v[84:85], s[2:3], v[86:87]
	v_add_f64 v[86:87], v[74:75], v[78:79]
	v_add_f64 v[84:85], v[8:9], v[74:75]
	v_add_f64 v[74:75], v[74:75], -v[78:79]
	v_fma_f64 v[86:87], v[86:87], -0.5, v[8:9]
	v_add_f64 v[84:85], v[84:85], v[78:79]
	v_fma_f64 v[8:9], v[88:89], s[2:3], v[86:87]
	v_fma_f64 v[120:121], v[88:89], s[14:15], v[86:87]
	v_add_f64 v[86:87], v[10:11], v[80:81]
	v_add_f64 v[80:81], v[80:81], v[82:83]
	;; [unrolled: 1-line block ×3, first 2 shown]
	v_fma_f64 v[80:81], v[80:81], -0.5, v[10:11]
	v_fma_f64 v[10:11], v[74:75], s[14:15], v[80:81]
	v_fma_f64 v[122:123], v[74:75], s[2:3], v[80:81]
	v_add_f64 v[74:75], v[4:5], v[68:69]
	v_add_f64 v[80:81], v[70:71], -v[76:77]
	v_add_f64 v[78:79], v[74:75], v[72:73]
	v_add_f64 v[74:75], v[68:69], v[72:73]
	v_add_f64 v[68:69], v[68:69], -v[72:73]
	v_fma_f64 v[74:75], v[74:75], -0.5, v[4:5]
	v_fma_f64 v[4:5], v[80:81], s[2:3], v[74:75]
	v_fma_f64 v[74:75], v[80:81], s[14:15], v[74:75]
	v_add_f64 v[80:81], v[6:7], v[70:71]
	v_add_f64 v[70:71], v[70:71], v[76:77]
	;; [unrolled: 1-line block ×3, first 2 shown]
	v_fma_f64 v[70:71], v[70:71], -0.5, v[6:7]
	v_fma_f64 v[6:7], v[68:69], s[14:15], v[70:71]
	v_fma_f64 v[76:77], v[68:69], s[2:3], v[70:71]
	v_add_f64 v[68:69], v[60:61], v[62:63]
	v_add_f64 v[70:71], v[66:67], -v[64:65]
	v_fma_f64 v[68:69], v[68:69], -0.5, v[0:1]
	v_fma_f64 v[92:93], v[70:71], s[2:3], v[68:69]
	v_fma_f64 v[88:89], v[70:71], s[14:15], v[68:69]
	v_add_f64 v[68:69], v[66:67], v[64:65]
	v_add_f64 v[70:71], v[60:61], -v[62:63]
	v_fma_f64 v[68:69], v[68:69], -0.5, v[2:3]
	v_fma_f64 v[94:95], v[70:71], s[14:15], v[68:69]
	v_fma_f64 v[90:91], v[70:71], s[2:3], v[68:69]
	v_mul_u32_u24_e32 v68, 9, v132
	v_add_lshl_u32 v68, v68, v133, 4
	ds_write_b128 v68, v[28:31]
	ds_write_b128 v68, v[40:43] offset:48
	v_mul_u32_u24_e32 v28, 9, v135
	v_add_lshl_u32 v28, v28, v136, 4
	buffer_store_dword v68, off, s[40:43], 0 offset:740 ; 4-byte Folded Spill
	ds_write_b128 v68, v[32:35] offset:96
	ds_write_b128 v28, v[44:47]
	ds_write_b128 v28, v[48:51] offset:48
	buffer_store_dword v28, off, s[40:43], 0 offset:744 ; 4-byte Folded Spill
	ds_write_b128 v28, v[36:39] offset:96
	v_mul_u32_u24_e32 v28, 9, v137
	v_add_lshl_u32 v28, v28, v138, 4
	ds_write_b128 v28, v[52:55]
	ds_write_b128 v28, v[56:59] offset:48
	ds_write_b128 v28, v[24:27] offset:96
	v_mul_u32_u24_e32 v24, 9, v140
	v_add_lshl_u32 v24, v24, v141, 4
	buffer_store_dword v28, off, s[40:43], 0 offset:748 ; 4-byte Folded Spill
	ds_write_b128 v24, v[108:111]
	ds_write_b128 v24, v[20:23] offset:48
	v_mad_legacy_u16 v20, v143, 9, v144
	v_lshlrev_b32_e32 v20, 4, v20
	buffer_store_dword v24, off, s[40:43], 0 offset:752 ; 4-byte Folded Spill
	ds_write_b128 v24, v[112:115] offset:96
	ds_write_b128 v20, v[100:103]
	ds_write_b128 v20, v[16:19] offset:48
	v_mad_legacy_u16 v16, v146, 9, v145
	v_lshlrev_b32_e32 v16, 4, v16
	buffer_store_dword v20, off, s[40:43], 0 offset:756 ; 4-byte Folded Spill
	ds_write_b128 v20, v[104:107] offset:96
	;; [unrolled: 6-line block ×4, first 2 shown]
	ds_write_b128 v8, v[78:81]
	ds_write_b128 v8, v[4:7] offset:48
	v_mad_legacy_u16 v4, v149, 9, v134
	buffer_store_dword v8, off, s[40:43], 0 offset:768 ; 4-byte Folded Spill
	ds_write_b128 v8, v[74:77] offset:96
	buffer_store_dword v4, off, s[40:43], 0 offset:772 ; 4-byte Folded Spill
	s_and_saveexec_b64 s[2:3], s[0:1]
	s_cbranch_execz .LBB0_11
; %bb.10:
	buffer_load_dword v4, off, s[40:43], 0 offset:772 ; 4-byte Folded Reload
	v_add_f64 v[2:3], v[2:3], v[66:67]
	v_add_f64 v[0:1], v[0:1], v[60:61]
	;; [unrolled: 1-line block ×4, first 2 shown]
	s_waitcnt vmcnt(0)
	v_lshlrev_b32_e32 v4, 4, v4
	ds_write_b128 v4, v[92:95] offset:48
	ds_write_b128 v4, v[0:3]
	ds_write_b128 v4, v[88:91] offset:96
.LBB0_11:
	s_or_b64 exec, exec, s[2:3]
	v_mov_b32_e32 v86, 57
	v_mul_lo_u16_sdwa v40, v193, v86 dst_sel:DWORD dst_unused:UNUSED_PAD src0_sel:BYTE_0 src1_sel:DWORD
	v_lshrrev_b16_e32 v142, 9, v40
	v_mul_lo_u16_e32 v40, 9, v142
	v_sub_u16_e32 v40, v193, v40
	v_and_b32_e32 v143, 0xff, v40
	v_lshlrev_b32_e32 v40, 6, v143
	s_waitcnt lgkmcnt(0)
	; wave barrier
	s_waitcnt lgkmcnt(0)
	ds_read_b128 v[42:45], v212
	ds_read_b128 v[66:69], v212 offset:5040
	ds_read_b128 v[70:73], v212 offset:10080
	;; [unrolled: 1-line block ×24, first 2 shown]
	global_load_dwordx4 v[108:111], v40, s[4:5] offset:144
	global_load_dwordx4 v[112:115], v40, s[4:5] offset:128
	;; [unrolled: 1-line block ×4, first 2 shown]
	s_mov_b32 s2, 0xe38f
	s_mov_b32 s18, 0x134454ff
	;; [unrolled: 1-line block ×9, first 2 shown]
	s_waitcnt vmcnt(0) lgkmcnt(14)
	v_mul_f64 v[40:41], v[68:69], v[128:129]
	v_fma_f64 v[134:135], v[66:67], v[126:127], -v[40:41]
	v_mul_f64 v[40:41], v[66:67], v[128:129]
	buffer_store_dword v126, off, s[40:43], 0 offset:824 ; 4-byte Folded Spill
	s_nop 0
	buffer_store_dword v127, off, s[40:43], 0 offset:828 ; 4-byte Folded Spill
	buffer_store_dword v128, off, s[40:43], 0 offset:832 ; 4-byte Folded Spill
	buffer_store_dword v129, off, s[40:43], 0 offset:836 ; 4-byte Folded Spill
	v_fma_f64 v[66:67], v[68:69], v[126:127], v[40:41]
	v_mul_f64 v[40:41], v[72:73], v[118:119]
	v_fma_f64 v[136:137], v[70:71], v[116:117], -v[40:41]
	v_mul_f64 v[40:41], v[70:71], v[118:119]
	buffer_store_dword v116, off, s[40:43], 0 offset:808 ; 4-byte Folded Spill
	s_nop 0
	buffer_store_dword v117, off, s[40:43], 0 offset:812 ; 4-byte Folded Spill
	buffer_store_dword v118, off, s[40:43], 0 offset:816 ; 4-byte Folded Spill
	buffer_store_dword v119, off, s[40:43], 0 offset:820 ; 4-byte Folded Spill
	v_fma_f64 v[116:117], v[72:73], v[116:117], v[40:41]
	;; [unrolled: 9-line block ×4, first 2 shown]
	v_mul_lo_u16_sdwa v40, v194, v86 dst_sel:DWORD dst_unused:UNUSED_PAD src0_sel:BYTE_0 src1_sel:DWORD
	v_lshrrev_b16_e32 v144, 9, v40
	v_mul_lo_u16_e32 v40, 9, v144
	v_sub_u16_e32 v40, v194, v40
	v_and_b32_e32 v145, 0xff, v40
	v_lshlrev_b32_e32 v40, 6, v145
	global_load_dwordx4 v[74:77], v40, s[4:5] offset:144
	global_load_dwordx4 v[112:115], v40, s[4:5] offset:128
	;; [unrolled: 1-line block ×4, first 2 shown]
	s_waitcnt vmcnt(0)
	v_mul_f64 v[40:41], v[84:85], v[110:111]
	v_fma_f64 v[78:79], v[82:83], v[108:109], -v[40:41]
	v_mul_f64 v[40:41], v[82:83], v[110:111]
	buffer_store_dword v108, off, s[40:43], 0 offset:888 ; 4-byte Folded Spill
	s_nop 0
	buffer_store_dword v109, off, s[40:43], 0 offset:892 ; 4-byte Folded Spill
	buffer_store_dword v110, off, s[40:43], 0 offset:896 ; 4-byte Folded Spill
	buffer_store_dword v111, off, s[40:43], 0 offset:900 ; 4-byte Folded Spill
	v_fma_f64 v[68:69], v[84:85], v[108:109], v[40:41]
	v_mul_f64 v[40:41], v[98:99], v[72:73]
	v_fma_f64 v[82:83], v[96:97], v[70:71], -v[40:41]
	v_mul_f64 v[40:41], v[96:97], v[72:73]
	buffer_store_dword v70, off, s[40:43], 0 offset:872 ; 4-byte Folded Spill
	s_nop 0
	buffer_store_dword v71, off, s[40:43], 0 offset:876 ; 4-byte Folded Spill
	buffer_store_dword v72, off, s[40:43], 0 offset:880 ; 4-byte Folded Spill
	buffer_store_dword v73, off, s[40:43], 0 offset:884 ; 4-byte Folded Spill
	v_fma_f64 v[70:71], v[98:99], v[70:71], v[40:41]
	;; [unrolled: 9-line block ×4, first 2 shown]
	v_mul_lo_u16_sdwa v40, v210, v86 dst_sel:DWORD dst_unused:UNUSED_PAD src0_sel:BYTE_0 src1_sel:DWORD
	v_lshrrev_b16_e32 v146, 9, v40
	v_mul_lo_u16_e32 v40, 9, v146
	v_sub_u16_e32 v40, v210, v40
	v_and_b32_e32 v147, 0xff, v40
	v_lshlrev_b32_e32 v40, 6, v147
	global_load_dwordx4 v[96:99], v40, s[4:5] offset:144
	global_load_dwordx4 v[102:105], v40, s[4:5] offset:128
	;; [unrolled: 1-line block ×4, first 2 shown]
	s_waitcnt vmcnt(0) lgkmcnt(13)
	v_mul_f64 v[40:41], v[124:125], v[128:129]
	v_fma_f64 v[76:77], v[122:123], v[126:127], -v[40:41]
	v_mul_f64 v[40:41], v[122:123], v[128:129]
	buffer_store_dword v126, off, s[40:43], 0 offset:952 ; 4-byte Folded Spill
	s_nop 0
	buffer_store_dword v127, off, s[40:43], 0 offset:956 ; 4-byte Folded Spill
	buffer_store_dword v128, off, s[40:43], 0 offset:960 ; 4-byte Folded Spill
	buffer_store_dword v129, off, s[40:43], 0 offset:964 ; 4-byte Folded Spill
	v_fma_f64 v[84:85], v[124:125], v[126:127], v[40:41]
	s_waitcnt lgkmcnt(12)
	v_mul_f64 v[40:41], v[64:65], v[108:109]
	v_fma_f64 v[80:81], v[62:63], v[106:107], -v[40:41]
	v_mul_f64 v[40:41], v[62:63], v[108:109]
	buffer_store_dword v106, off, s[40:43], 0 offset:936 ; 4-byte Folded Spill
	s_nop 0
	buffer_store_dword v107, off, s[40:43], 0 offset:940 ; 4-byte Folded Spill
	buffer_store_dword v108, off, s[40:43], 0 offset:944 ; 4-byte Folded Spill
	buffer_store_dword v109, off, s[40:43], 0 offset:948 ; 4-byte Folded Spill
	v_fma_f64 v[100:101], v[64:65], v[106:107], v[40:41]
	s_waitcnt lgkmcnt(11)
	;; [unrolled: 10-line block ×3, first 2 shown]
	v_mul_f64 v[40:41], v[56:57], v[98:99]
	v_fma_f64 v[108:109], v[54:55], v[96:97], -v[40:41]
	v_mul_f64 v[40:41], v[54:55], v[98:99]
	buffer_store_dword v96, off, s[40:43], 0 offset:904 ; 4-byte Folded Spill
	s_nop 0
	buffer_store_dword v97, off, s[40:43], 0 offset:908 ; 4-byte Folded Spill
	buffer_store_dword v98, off, s[40:43], 0 offset:912 ; 4-byte Folded Spill
	buffer_store_dword v99, off, s[40:43], 0 offset:916 ; 4-byte Folded Spill
	v_fma_f64 v[104:105], v[56:57], v[96:97], v[40:41]
	v_mul_lo_u16_sdwa v40, v214, v86 dst_sel:DWORD dst_unused:UNUSED_PAD src0_sel:BYTE_0 src1_sel:DWORD
	v_lshrrev_b16_e32 v148, 9, v40
	v_mul_lo_u16_e32 v40, 9, v148
	v_sub_u16_e32 v40, v214, v40
	v_and_b32_e32 v149, 0xff, v40
	v_lshlrev_b32_e32 v40, 6, v149
	global_load_dwordx4 v[54:57], v40, s[4:5] offset:144
	global_load_dwordx4 v[58:61], v40, s[4:5] offset:128
	;; [unrolled: 1-line block ×4, first 2 shown]
	s_waitcnt vmcnt(0) lgkmcnt(8)
	v_mul_f64 v[40:41], v[14:15], v[98:99]
	v_fma_f64 v[86:87], v[12:13], v[96:97], -v[40:41]
	v_mul_f64 v[12:13], v[12:13], v[98:99]
	buffer_store_dword v96, off, s[40:43], 0 offset:1016 ; 4-byte Folded Spill
	s_nop 0
	buffer_store_dword v97, off, s[40:43], 0 offset:1020 ; 4-byte Folded Spill
	buffer_store_dword v98, off, s[40:43], 0 offset:1024 ; 4-byte Folded Spill
	buffer_store_dword v99, off, s[40:43], 0 offset:1028 ; 4-byte Folded Spill
	v_add_f64 v[40:41], v[140:141], -v[138:139]
	v_fma_f64 v[12:13], v[14:15], v[96:97], v[12:13]
	s_waitcnt lgkmcnt(7)
	v_mul_f64 v[14:15], v[10:11], v[64:65]
	v_fma_f64 v[14:15], v[8:9], v[62:63], -v[14:15]
	v_mul_f64 v[8:9], v[8:9], v[64:65]
	buffer_store_dword v62, off, s[40:43], 0 offset:1000 ; 4-byte Folded Spill
	s_nop 0
	buffer_store_dword v63, off, s[40:43], 0 offset:1004 ; 4-byte Folded Spill
	buffer_store_dword v64, off, s[40:43], 0 offset:1008 ; 4-byte Folded Spill
	buffer_store_dword v65, off, s[40:43], 0 offset:1012 ; 4-byte Folded Spill
	v_fma_f64 v[8:9], v[10:11], v[62:63], v[8:9]
	s_waitcnt lgkmcnt(6)
	v_mul_f64 v[10:11], v[6:7], v[60:61]
	v_fma_f64 v[96:97], v[4:5], v[58:59], -v[10:11]
	v_mul_f64 v[4:5], v[4:5], v[60:61]
	buffer_store_dword v58, off, s[40:43], 0 offset:984 ; 4-byte Folded Spill
	s_nop 0
	buffer_store_dword v59, off, s[40:43], 0 offset:988 ; 4-byte Folded Spill
	buffer_store_dword v60, off, s[40:43], 0 offset:992 ; 4-byte Folded Spill
	buffer_store_dword v61, off, s[40:43], 0 offset:996 ; 4-byte Folded Spill
	;; [unrolled: 10-line block ×3, first 2 shown]
	v_add_f64 v[4:5], v[66:67], -v[132:133]
	v_fma_f64 v[2:3], v[2:3], v[54:55], v[0:1]
	v_mul_u32_u24_sdwa v0, v215, s2 dst_sel:DWORD dst_unused:UNUSED_PAD src0_sel:WORD_0 src1_sel:DWORD
	v_lshrrev_b32_e32 v150, 19, v0
	v_mul_lo_u16_e32 v0, 9, v150
	v_sub_u16_e32 v151, v215, v0
	v_lshlrev_b16_e32 v0, 6, v151
	v_add_co_u32_e32 v0, vcc, s4, v0
	v_mov_b32_e32 v1, s5
	v_addc_co_u32_e32 v1, vcc, 0, v1, vcc
	global_load_dwordx4 v[54:57], v[0:1], off offset:144
	global_load_dwordx4 v[58:61], v[0:1], off offset:128
	;; [unrolled: 1-line block ×4, first 2 shown]
	s_mov_b32 s2, 0x372fe950
	s_mov_b32 s3, 0x3fd3c6ef
	s_waitcnt vmcnt(0) lgkmcnt(3)
	v_mul_f64 v[0:1], v[52:53], v[124:125]
	v_fma_f64 v[114:115], v[50:51], v[122:123], -v[0:1]
	v_mul_f64 v[0:1], v[50:51], v[124:125]
	buffer_store_dword v122, off, s[40:43], 0 offset:1080 ; 4-byte Folded Spill
	s_nop 0
	buffer_store_dword v123, off, s[40:43], 0 offset:1084 ; 4-byte Folded Spill
	buffer_store_dword v124, off, s[40:43], 0 offset:1088 ; 4-byte Folded Spill
	;; [unrolled: 1-line block ×3, first 2 shown]
	v_fma_f64 v[10:11], v[52:53], v[122:123], v[0:1]
	s_waitcnt lgkmcnt(2)
	v_mul_f64 v[0:1], v[48:49], v[64:65]
	v_add_f64 v[52:53], v[132:133], -v[120:121]
	v_fma_f64 v[126:127], v[46:47], v[62:63], -v[0:1]
	v_mul_f64 v[0:1], v[46:47], v[64:65]
	buffer_store_dword v62, off, s[40:43], 0 offset:1064 ; 4-byte Folded Spill
	s_nop 0
	buffer_store_dword v63, off, s[40:43], 0 offset:1068 ; 4-byte Folded Spill
	buffer_store_dword v64, off, s[40:43], 0 offset:1072 ; 4-byte Folded Spill
	;; [unrolled: 1-line block ×3, first 2 shown]
	v_add_f64 v[46:47], v[138:139], -v[140:141]
	v_add_f64 v[64:65], v[74:75], -v[72:73]
	v_fma_f64 v[118:119], v[48:49], v[62:63], v[0:1]
	s_waitcnt lgkmcnt(1)
	v_mul_f64 v[0:1], v[38:39], v[60:61]
	v_add_f64 v[48:49], v[136:137], -v[138:139]
	v_fma_f64 v[128:129], v[36:37], v[58:59], -v[0:1]
	v_mul_f64 v[0:1], v[36:37], v[60:61]
	buffer_store_dword v58, off, s[40:43], 0 offset:1048 ; 4-byte Folded Spill
	s_nop 0
	buffer_store_dword v59, off, s[40:43], 0 offset:1052 ; 4-byte Folded Spill
	buffer_store_dword v60, off, s[40:43], 0 offset:1056 ; 4-byte Folded Spill
	buffer_store_dword v61, off, s[40:43], 0 offset:1060 ; 4-byte Folded Spill
	v_add_f64 v[36:37], v[134:135], -v[136:137]
	v_add_f64 v[60:61], v[112:113], -v[110:111]
	v_add_f64 v[36:37], v[36:37], v[40:41]
	v_fma_f64 v[122:123], v[38:39], v[58:59], v[0:1]
	s_waitcnt lgkmcnt(0)
	v_mul_f64 v[0:1], v[34:35], v[56:57]
	v_add_f64 v[38:39], v[116:117], -v[120:121]
	v_add_f64 v[58:59], v[78:79], -v[82:83]
	v_fma_f64 v[130:131], v[32:33], v[54:55], -v[0:1]
	v_mul_f64 v[0:1], v[32:33], v[56:57]
	buffer_store_dword v54, off, s[40:43], 0 offset:1032 ; 4-byte Folded Spill
	s_nop 0
	buffer_store_dword v55, off, s[40:43], 0 offset:1036 ; 4-byte Folded Spill
	buffer_store_dword v56, off, s[40:43], 0 offset:1040 ; 4-byte Folded Spill
	;; [unrolled: 1-line block ×3, first 2 shown]
	v_add_f64 v[56:57], v[70:71], -v[72:73]
	v_add_f64 v[58:59], v[58:59], v[60:61]
	v_add_f64 v[60:61], v[110:111], -v[112:113]
	s_waitcnt lgkmcnt(0)
	; wave barrier
	v_fma_f64 v[124:125], v[34:35], v[54:55], v[0:1]
	v_add_f64 v[0:1], v[42:43], v[134:135]
	v_add_f64 v[54:55], v[120:121], -v[132:133]
	v_add_f64 v[0:1], v[0:1], v[136:137]
	v_add_f64 v[0:1], v[0:1], v[138:139]
	;; [unrolled: 1-line block ×4, first 2 shown]
	v_fma_f64 v[0:1], v[0:1], -0.5, v[42:43]
	v_fma_f64 v[34:35], v[4:5], s[18:19], v[0:1]
	v_fma_f64 v[0:1], v[4:5], s[20:21], v[0:1]
	;; [unrolled: 1-line block ×6, first 2 shown]
	v_add_f64 v[0:1], v[134:135], v[140:141]
	v_fma_f64 v[0:1], v[0:1], -0.5, v[42:43]
	v_add_f64 v[42:43], v[136:137], -v[134:135]
	v_fma_f64 v[34:35], v[38:39], s[20:21], v[0:1]
	v_fma_f64 v[0:1], v[38:39], s[18:19], v[0:1]
	v_add_f64 v[42:43], v[42:43], v[46:47]
	v_fma_f64 v[34:35], v[4:5], s[14:15], v[34:35]
	v_fma_f64 v[0:1], v[4:5], s[22:23], v[0:1]
	v_add_f64 v[4:5], v[134:135], -v[140:141]
	v_fma_f64 v[50:51], v[42:43], s[2:3], v[34:35]
	v_fma_f64 v[46:47], v[42:43], s[2:3], v[0:1]
	v_add_f64 v[0:1], v[44:45], v[66:67]
	v_add_f64 v[42:43], v[66:67], -v[116:117]
	v_add_f64 v[0:1], v[0:1], v[116:117]
	v_add_f64 v[52:53], v[42:43], v[52:53]
	;; [unrolled: 1-line block ×5, first 2 shown]
	v_fma_f64 v[0:1], v[0:1], -0.5, v[44:45]
	v_fma_f64 v[38:39], v[4:5], s[20:21], v[0:1]
	v_fma_f64 v[0:1], v[4:5], s[18:19], v[0:1]
	;; [unrolled: 1-line block ×6, first 2 shown]
	v_add_f64 v[0:1], v[66:67], v[132:133]
	v_add_f64 v[52:53], v[116:117], -v[66:67]
	v_fma_f64 v[0:1], v[0:1], -0.5, v[44:45]
	v_add_f64 v[54:55], v[52:53], v[54:55]
	v_fma_f64 v[44:45], v[48:49], s[18:19], v[0:1]
	v_fma_f64 v[0:1], v[48:49], s[20:21], v[0:1]
	;; [unrolled: 1-line block ×4, first 2 shown]
	v_add_f64 v[4:5], v[68:69], -v[74:75]
	v_fma_f64 v[52:53], v[54:55], s[2:3], v[44:45]
	v_fma_f64 v[48:49], v[54:55], s[2:3], v[0:1]
	v_add_f64 v[0:1], v[28:29], v[78:79]
	v_add_f64 v[0:1], v[0:1], v[82:83]
	;; [unrolled: 1-line block ×5, first 2 shown]
	v_fma_f64 v[0:1], v[0:1], -0.5, v[28:29]
	v_fma_f64 v[44:45], v[4:5], s[18:19], v[0:1]
	v_fma_f64 v[0:1], v[4:5], s[20:21], v[0:1]
	;; [unrolled: 1-line block ×6, first 2 shown]
	v_add_f64 v[0:1], v[78:79], v[112:113]
	v_add_f64 v[44:45], v[82:83], -v[78:79]
	v_fma_f64 v[0:1], v[0:1], -0.5, v[28:29]
	v_add_f64 v[44:45], v[44:45], v[60:61]
	v_add_f64 v[60:61], v[68:69], -v[70:71]
	v_fma_f64 v[28:29], v[56:57], s[20:21], v[0:1]
	v_fma_f64 v[0:1], v[56:57], s[18:19], v[0:1]
	v_add_f64 v[60:61], v[60:61], v[64:65]
	v_fma_f64 v[28:29], v[4:5], s[14:15], v[28:29]
	v_fma_f64 v[0:1], v[4:5], s[22:23], v[0:1]
	v_add_f64 v[4:5], v[78:79], -v[112:113]
	v_add_f64 v[78:79], v[82:83], -v[110:111]
	;; [unrolled: 1-line block ×3, first 2 shown]
	v_fma_f64 v[66:67], v[44:45], s[2:3], v[28:29]
	v_fma_f64 v[28:29], v[44:45], s[2:3], v[0:1]
	v_add_f64 v[0:1], v[30:31], v[68:69]
	v_add_f64 v[0:1], v[0:1], v[70:71]
	;; [unrolled: 1-line block ×5, first 2 shown]
	v_fma_f64 v[0:1], v[0:1], -0.5, v[30:31]
	v_fma_f64 v[44:45], v[4:5], s[20:21], v[0:1]
	v_fma_f64 v[0:1], v[4:5], s[18:19], v[0:1]
	;; [unrolled: 1-line block ×6, first 2 shown]
	v_add_f64 v[0:1], v[68:69], v[74:75]
	v_add_f64 v[44:45], v[70:71], -v[68:69]
	v_add_f64 v[68:69], v[72:73], -v[74:75]
	;; [unrolled: 1-line block ×4, first 2 shown]
	v_fma_f64 v[0:1], v[0:1], -0.5, v[30:31]
	v_add_f64 v[44:45], v[44:45], v[68:69]
	v_fma_f64 v[30:31], v[78:79], s[18:19], v[0:1]
	v_fma_f64 v[0:1], v[78:79], s[20:21], v[0:1]
	v_add_f64 v[78:79], v[108:109], -v[106:107]
	v_fma_f64 v[30:31], v[4:5], s[22:23], v[30:31]
	v_fma_f64 v[0:1], v[4:5], s[14:15], v[0:1]
	v_add_f64 v[4:5], v[84:85], -v[104:105]
	v_add_f64 v[74:75], v[74:75], v[78:79]
	v_fma_f64 v[68:69], v[44:45], s[2:3], v[30:31]
	v_fma_f64 v[30:31], v[44:45], s[2:3], v[0:1]
	v_add_f64 v[0:1], v[24:25], v[76:77]
	v_add_f64 v[0:1], v[0:1], v[80:81]
	;; [unrolled: 1-line block ×5, first 2 shown]
	v_add_f64 v[106:107], v[80:81], -v[106:107]
	v_fma_f64 v[0:1], v[0:1], -0.5, v[24:25]
	v_fma_f64 v[44:45], v[4:5], s[18:19], v[0:1]
	v_fma_f64 v[0:1], v[4:5], s[20:21], v[0:1]
	;; [unrolled: 1-line block ×6, first 2 shown]
	v_add_f64 v[0:1], v[76:77], v[108:109]
	v_add_f64 v[44:45], v[80:81], -v[76:77]
	v_add_f64 v[80:81], v[104:105], -v[102:103]
	v_fma_f64 v[0:1], v[0:1], -0.5, v[24:25]
	v_add_f64 v[44:45], v[44:45], v[82:83]
	v_fma_f64 v[24:25], v[72:73], s[20:21], v[0:1]
	v_fma_f64 v[0:1], v[72:73], s[18:19], v[0:1]
	;; [unrolled: 1-line block ×4, first 2 shown]
	v_add_f64 v[4:5], v[76:77], -v[108:109]
	v_add_f64 v[76:77], v[84:85], -v[100:101]
	v_fma_f64 v[82:83], v[44:45], s[2:3], v[24:25]
	v_fma_f64 v[24:25], v[44:45], s[2:3], v[0:1]
	v_add_f64 v[0:1], v[26:27], v[84:85]
	v_add_f64 v[76:77], v[76:77], v[80:81]
	v_add_f64 v[0:1], v[0:1], v[100:101]
	v_add_f64 v[0:1], v[0:1], v[102:103]
	v_add_f64 v[72:73], v[0:1], v[104:105]
	v_add_f64 v[0:1], v[100:101], v[102:103]
	v_fma_f64 v[0:1], v[0:1], -0.5, v[26:27]
	v_fma_f64 v[44:45], v[4:5], s[20:21], v[0:1]
	v_fma_f64 v[0:1], v[4:5], s[18:19], v[0:1]
	;; [unrolled: 1-line block ×6, first 2 shown]
	v_add_f64 v[0:1], v[84:85], v[104:105]
	v_add_f64 v[44:45], v[100:101], -v[84:85]
	v_add_f64 v[84:85], v[102:103], -v[104:105]
	;; [unrolled: 1-line block ×4, first 2 shown]
	v_fma_f64 v[0:1], v[0:1], -0.5, v[26:27]
	v_add_f64 v[44:45], v[44:45], v[84:85]
	v_fma_f64 v[26:27], v[106:107], s[18:19], v[0:1]
	v_fma_f64 v[0:1], v[106:107], s[20:21], v[0:1]
	v_add_f64 v[106:107], v[98:99], -v[96:97]
	v_fma_f64 v[26:27], v[4:5], s[22:23], v[26:27]
	v_fma_f64 v[0:1], v[4:5], s[14:15], v[0:1]
	v_add_f64 v[104:105], v[104:105], v[106:107]
	v_add_f64 v[106:107], v[96:97], -v[98:99]
	v_fma_f64 v[84:85], v[44:45], s[2:3], v[26:27]
	v_fma_f64 v[26:27], v[44:45], s[2:3], v[0:1]
	v_add_f64 v[0:1], v[20:21], v[86:87]
	v_add_f64 v[44:45], v[12:13], -v[2:3]
	v_add_f64 v[0:1], v[0:1], v[14:15]
	v_add_f64 v[0:1], v[0:1], v[96:97]
	;; [unrolled: 1-line block ×4, first 2 shown]
	v_fma_f64 v[0:1], v[0:1], -0.5, v[20:21]
	v_fma_f64 v[4:5], v[44:45], s[18:19], v[0:1]
	v_fma_f64 v[0:1], v[44:45], s[20:21], v[0:1]
	;; [unrolled: 1-line block ×6, first 2 shown]
	v_add_f64 v[0:1], v[86:87], v[98:99]
	v_fma_f64 v[0:1], v[0:1], -0.5, v[20:21]
	v_add_f64 v[20:21], v[14:15], -v[86:87]
	v_add_f64 v[14:15], v[14:15], -v[96:97]
	;; [unrolled: 1-line block ×3, first 2 shown]
	v_fma_f64 v[4:5], v[102:103], s[20:21], v[0:1]
	v_fma_f64 v[0:1], v[102:103], s[18:19], v[0:1]
	v_add_f64 v[20:21], v[20:21], v[106:107]
	v_fma_f64 v[4:5], v[44:45], s[14:15], v[4:5]
	v_fma_f64 v[0:1], v[44:45], s[22:23], v[0:1]
	v_add_f64 v[44:45], v[86:87], -v[98:99]
	v_add_f64 v[98:99], v[2:3], -v[6:7]
	v_fma_f64 v[4:5], v[20:21], s[2:3], v[4:5]
	v_fma_f64 v[0:1], v[20:21], s[2:3], v[0:1]
	v_add_f64 v[20:21], v[22:23], v[12:13]
	v_add_f64 v[96:97], v[96:97], v[98:99]
	;; [unrolled: 1-line block ×6, first 2 shown]
	v_add_f64 v[8:9], v[8:9], -v[12:13]
	v_fma_f64 v[20:21], v[20:21], -0.5, v[22:23]
	v_fma_f64 v[86:87], v[44:45], s[20:21], v[20:21]
	v_fma_f64 v[20:21], v[44:45], s[18:19], v[20:21]
	v_fma_f64 v[86:87], v[14:15], s[22:23], v[86:87]
	v_fma_f64 v[20:21], v[14:15], s[14:15], v[20:21]
	v_fma_f64 v[110:111], v[96:97], s[2:3], v[86:87]
	v_fma_f64 v[106:107], v[96:97], s[2:3], v[20:21]
	v_add_f64 v[20:21], v[12:13], v[2:3]
	v_add_f64 v[2:3], v[6:7], -v[2:3]
	v_add_f64 v[86:87], v[130:131], -v[128:129]
	v_fma_f64 v[20:21], v[20:21], -0.5, v[22:23]
	v_add_f64 v[2:3], v[8:9], v[2:3]
	v_fma_f64 v[22:23], v[14:15], s[18:19], v[20:21]
	v_fma_f64 v[8:9], v[14:15], s[20:21], v[20:21]
	v_add_f64 v[14:15], v[10:11], -v[124:125]
	v_fma_f64 v[22:23], v[44:45], s[22:23], v[22:23]
	v_fma_f64 v[8:9], v[44:45], s[14:15], v[8:9]
	v_add_f64 v[44:45], v[114:115], -v[126:127]
	v_fma_f64 v[6:7], v[2:3], s[2:3], v[22:23]
	v_fma_f64 v[2:3], v[2:3], s[2:3], v[8:9]
	v_add_f64 v[8:9], v[16:17], v[114:115]
	v_add_f64 v[22:23], v[118:119], -v[122:123]
	v_add_f64 v[44:45], v[44:45], v[86:87]
	v_add_f64 v[86:87], v[124:125], -v[122:123]
	v_add_f64 v[8:9], v[8:9], v[126:127]
	v_add_f64 v[8:9], v[8:9], v[128:129]
	;; [unrolled: 1-line block ×4, first 2 shown]
	v_fma_f64 v[8:9], v[8:9], -0.5, v[16:17]
	v_fma_f64 v[20:21], v[14:15], s[18:19], v[8:9]
	v_fma_f64 v[8:9], v[14:15], s[20:21], v[8:9]
	;; [unrolled: 1-line block ×6, first 2 shown]
	v_add_f64 v[8:9], v[114:115], v[130:131]
	v_add_f64 v[20:21], v[126:127], -v[114:115]
	v_add_f64 v[44:45], v[128:129], -v[130:131]
	v_fma_f64 v[8:9], v[8:9], -0.5, v[16:17]
	v_add_f64 v[20:21], v[20:21], v[44:45]
	v_add_f64 v[44:45], v[10:11], -v[118:119]
	v_fma_f64 v[16:17], v[22:23], s[20:21], v[8:9]
	v_fma_f64 v[8:9], v[22:23], s[18:19], v[8:9]
	v_add_f64 v[22:23], v[126:127], -v[128:129]
	v_add_f64 v[44:45], v[44:45], v[86:87]
	v_fma_f64 v[16:17], v[14:15], s[14:15], v[16:17]
	v_fma_f64 v[8:9], v[14:15], s[22:23], v[8:9]
	;; [unrolled: 1-line block ×4, first 2 shown]
	v_add_f64 v[8:9], v[18:19], v[10:11]
	v_add_f64 v[16:17], v[114:115], -v[130:131]
	v_add_f64 v[8:9], v[8:9], v[118:119]
	v_add_f64 v[8:9], v[8:9], v[122:123]
	;; [unrolled: 1-line block ×4, first 2 shown]
	v_fma_f64 v[8:9], v[8:9], -0.5, v[18:19]
	v_fma_f64 v[20:21], v[16:17], s[20:21], v[8:9]
	v_fma_f64 v[8:9], v[16:17], s[18:19], v[8:9]
	;; [unrolled: 1-line block ×6, first 2 shown]
	v_add_f64 v[8:9], v[10:11], v[124:125]
	v_add_f64 v[10:11], v[118:119], -v[10:11]
	v_add_f64 v[20:21], v[122:123], -v[124:125]
                                        ; implicit-def: $vgpr124_vgpr125
	v_fma_f64 v[8:9], v[8:9], -0.5, v[18:19]
	v_add_f64 v[10:11], v[10:11], v[20:21]
	v_fma_f64 v[18:19], v[22:23], s[18:19], v[8:9]
	v_fma_f64 v[8:9], v[22:23], s[20:21], v[8:9]
	;; [unrolled: 1-line block ×6, first 2 shown]
	v_mul_u32_u24_e32 v8, 45, v142
	v_add_lshl_u32 v8, v8, v143, 4
	ds_write_b128 v8, v[32:35]
	ds_write_b128 v8, v[40:43] offset:144
	ds_write_b128 v8, v[50:53] offset:288
	;; [unrolled: 1-line block ×3, first 2 shown]
	buffer_store_dword v8, off, s[40:43], 0 offset:1096 ; 4-byte Folded Spill
	ds_write_b128 v8, v[36:39] offset:576
	v_mul_u32_u24_e32 v8, 45, v144
	v_add_lshl_u32 v8, v8, v145, 4
	ds_write_b128 v8, v[54:57]
	ds_write_b128 v8, v[62:65] offset:144
	ds_write_b128 v8, v[66:69] offset:288
	v_mov_b32_e32 v66, v8
	ds_write_b128 v8, v[28:31] offset:432
	ds_write_b128 v8, v[58:61] offset:576
	v_mul_u32_u24_e32 v8, 45, v146
	v_add_lshl_u32 v67, v8, v147, 4
	v_mul_u32_u24_e32 v8, 45, v148
	v_add_lshl_u32 v8, v8, v149, 4
	ds_write_b128 v67, v[70:73]
	ds_write_b128 v67, v[78:81] offset:144
	ds_write_b128 v67, v[82:85] offset:288
	;; [unrolled: 1-line block ×4, first 2 shown]
	ds_write_b128 v8, v[100:103]
	ds_write_b128 v8, v[108:111] offset:144
	ds_write_b128 v8, v[4:7] offset:288
	ds_write_b128 v8, v[0:3] offset:432
	v_mad_legacy_u16 v0, v150, 45, v151
	v_lshlrev_b32_e32 v0, 4, v0
	buffer_store_dword v8, off, s[40:43], 0 offset:1100 ; 4-byte Folded Spill
	ds_write_b128 v8, v[104:107] offset:576
	ds_write_b128 v0, v[12:15]
	ds_write_b128 v0, v[96:99] offset:144
	ds_write_b128 v0, v[116:119] offset:288
	;; [unrolled: 1-line block ×3, first 2 shown]
	buffer_store_dword v0, off, s[40:43], 0 offset:1104 ; 4-byte Folded Spill
	ds_write_b128 v0, v[112:115] offset:576
	s_waitcnt lgkmcnt(0)
	; wave barrier
	s_waitcnt lgkmcnt(0)
	ds_read_b128 v[108:111], v212
	ds_read_b128 v[40:43], v212 offset:3600
	ds_read_b128 v[36:39], v212 offset:7200
	;; [unrolled: 1-line block ×20, first 2 shown]
	v_cmp_gt_u16_e64 s[2:3], 36, v193
	s_and_saveexec_b64 s[14:15], s[2:3]
	s_cbranch_execz .LBB0_13
; %bb.12:
	ds_read_b128 v[96:99], v212 offset:3024
	ds_read_b128 v[116:119], v212 offset:6624
	;; [unrolled: 1-line block ×7, first 2 shown]
.LBB0_13:
	s_or_b64 exec, exec, s[14:15]
	v_subrev_u32_e32 v44, 45, v193
	v_cmp_gt_u16_e32 vcc, 45, v193
	v_cndmask_b32_e32 v172, v44, v193, vcc
	v_mul_i32_i24_e32 v44, 0x60, v172
	v_mul_hi_i32_i24_e32 v45, 0x60, v172
	v_add_co_u32_e32 v44, vcc, s4, v44
	v_mov_b32_e32 v46, s5
	v_addc_co_u32_e32 v45, vcc, v46, v45, vcc
	global_load_dwordx4 v[52:55], v[44:45], off offset:720
	global_load_dwordx4 v[56:59], v[44:45], off offset:704
	;; [unrolled: 1-line block ×4, first 2 shown]
	s_movk_i32 s15, 0x6d
	s_movk_i32 s14, 0x60
	s_mov_b32 s22, 0xe976ee23
	s_mov_b32 s20, 0x429ad128
	;; [unrolled: 1-line block ×16, first 2 shown]
	v_cmp_lt_u16_e32 vcc, 44, v193
	s_waitcnt vmcnt(0) lgkmcnt(14)
	v_mul_f64 v[46:47], v[42:43], v[70:71]
	v_fma_f64 v[148:149], v[40:41], v[68:69], -v[46:47]
	v_mul_f64 v[40:41], v[40:41], v[70:71]
	buffer_store_dword v68, off, s[40:43], 0 offset:1156 ; 4-byte Folded Spill
	s_nop 0
	buffer_store_dword v69, off, s[40:43], 0 offset:1160 ; 4-byte Folded Spill
	buffer_store_dword v70, off, s[40:43], 0 offset:1164 ; 4-byte Folded Spill
	buffer_store_dword v71, off, s[40:43], 0 offset:1168 ; 4-byte Folded Spill
	v_fma_f64 v[154:155], v[42:43], v[68:69], v[40:41]
	v_mul_f64 v[40:41], v[38:39], v[62:63]
	v_fma_f64 v[150:151], v[36:37], v[60:61], -v[40:41]
	v_mul_f64 v[36:37], v[36:37], v[62:63]
	buffer_store_dword v60, off, s[40:43], 0 offset:1140 ; 4-byte Folded Spill
	s_nop 0
	buffer_store_dword v61, off, s[40:43], 0 offset:1144 ; 4-byte Folded Spill
	buffer_store_dword v62, off, s[40:43], 0 offset:1148 ; 4-byte Folded Spill
	buffer_store_dword v63, off, s[40:43], 0 offset:1152 ; 4-byte Folded Spill
	v_mov_b32_e32 v41, s5
	v_mov_b32_e32 v40, s4
	v_fma_f64 v[156:157], v[38:39], v[60:61], v[36:37]
	v_mul_f64 v[36:37], v[34:35], v[58:59]
	v_fma_f64 v[152:153], v[32:33], v[56:57], -v[36:37]
	v_mul_f64 v[32:33], v[32:33], v[58:59]
	buffer_store_dword v56, off, s[40:43], 0 offset:1124 ; 4-byte Folded Spill
	s_nop 0
	buffer_store_dword v57, off, s[40:43], 0 offset:1128 ; 4-byte Folded Spill
	buffer_store_dword v58, off, s[40:43], 0 offset:1132 ; 4-byte Folded Spill
	;; [unrolled: 1-line block ×3, first 2 shown]
	v_fma_f64 v[158:159], v[34:35], v[56:57], v[32:33]
	v_mul_f64 v[32:33], v[30:31], v[54:55]
	v_fma_f64 v[160:161], v[28:29], v[52:53], -v[32:33]
	v_mul_f64 v[28:29], v[28:29], v[54:55]
	buffer_store_dword v52, off, s[40:43], 0 offset:1108 ; 4-byte Folded Spill
	s_nop 0
	buffer_store_dword v53, off, s[40:43], 0 offset:1112 ; 4-byte Folded Spill
	buffer_store_dword v54, off, s[40:43], 0 offset:1116 ; 4-byte Folded Spill
	;; [unrolled: 1-line block ×3, first 2 shown]
	v_fma_f64 v[162:163], v[30:31], v[52:53], v[28:29]
	global_load_dwordx4 v[30:33], v[44:45], off offset:752
	global_load_dwordx4 v[34:37], v[44:45], off offset:736
	s_waitcnt vmcnt(0)
	v_mul_f64 v[28:29], v[26:27], v[36:37]
	v_fma_f64 v[164:165], v[24:25], v[34:35], -v[28:29]
	v_mul_f64 v[24:25], v[24:25], v[36:37]
	buffer_store_dword v34, off, s[40:43], 0 offset:1204 ; 4-byte Folded Spill
	s_nop 0
	buffer_store_dword v35, off, s[40:43], 0 offset:1208 ; 4-byte Folded Spill
	buffer_store_dword v36, off, s[40:43], 0 offset:1212 ; 4-byte Folded Spill
	;; [unrolled: 1-line block ×3, first 2 shown]
	v_fma_f64 v[166:167], v[26:27], v[34:35], v[24:25]
	v_mul_f64 v[24:25], v[22:23], v[32:33]
	v_fma_f64 v[168:169], v[20:21], v[30:31], -v[24:25]
	v_mul_f64 v[20:21], v[20:21], v[32:33]
	buffer_store_dword v30, off, s[40:43], 0 offset:1172 ; 4-byte Folded Spill
	s_nop 0
	buffer_store_dword v31, off, s[40:43], 0 offset:1176 ; 4-byte Folded Spill
	buffer_store_dword v32, off, s[40:43], 0 offset:1180 ; 4-byte Folded Spill
	;; [unrolled: 1-line block ×3, first 2 shown]
	v_fma_f64 v[170:171], v[22:23], v[30:31], v[20:21]
	v_mul_lo_u16_sdwa v20, v194, s15 dst_sel:DWORD dst_unused:UNUSED_PAD src0_sel:BYTE_0 src1_sel:DWORD
	v_sub_u16_sdwa v21, v194, v20 dst_sel:DWORD dst_unused:UNUSED_PAD src0_sel:DWORD src1_sel:BYTE_1
	v_lshrrev_b16_e32 v21, 1, v21
	v_and_b32_e32 v21, 0x7f, v21
	v_add_u16_sdwa v20, v21, v20 dst_sel:DWORD dst_unused:UNUSED_PAD src0_sel:DWORD src1_sel:BYTE_1
	v_lshrrev_b16_e32 v36, 5, v20
	v_mul_lo_u16_e32 v20, 45, v36
	v_sub_u16_e32 v20, v194, v20
	v_and_b32_e32 v37, 0xff, v20
	v_mad_u64_u32 v[26:27], s[18:19], v37, s14, v[40:41]
	global_load_dwordx4 v[28:31], v[26:27], off offset:720
	global_load_dwordx4 v[32:35], v[26:27], off offset:704
	;; [unrolled: 1-line block ×4, first 2 shown]
	v_mul_u32_u24_e32 v36, 0x13b, v36
	v_add_lshl_u32 v36, v36, v37, 4
	s_waitcnt vmcnt(0) lgkmcnt(12)
	v_mul_f64 v[20:21], v[50:51], v[54:55]
	v_mul_f64 v[22:23], v[48:49], v[54:55]
	v_fma_f64 v[20:21], v[48:49], v[52:53], -v[20:21]
	buffer_store_dword v52, off, s[40:43], 0 offset:1284 ; 4-byte Folded Spill
	s_nop 0
	buffer_store_dword v53, off, s[40:43], 0 offset:1288 ; 4-byte Folded Spill
	buffer_store_dword v54, off, s[40:43], 0 offset:1292 ; 4-byte Folded Spill
	buffer_store_dword v55, off, s[40:43], 0 offset:1296 ; 4-byte Folded Spill
	v_fma_f64 v[24:25], v[50:51], v[52:53], v[22:23]
	s_waitcnt lgkmcnt(11)
	v_mul_f64 v[22:23], v[18:19], v[44:45]
	v_fma_f64 v[22:23], v[16:17], v[42:43], -v[22:23]
	v_mul_f64 v[16:17], v[16:17], v[44:45]
	buffer_store_dword v42, off, s[40:43], 0 offset:1252 ; 4-byte Folded Spill
	s_nop 0
	buffer_store_dword v43, off, s[40:43], 0 offset:1256 ; 4-byte Folded Spill
	buffer_store_dword v44, off, s[40:43], 0 offset:1260 ; 4-byte Folded Spill
	buffer_store_dword v45, off, s[40:43], 0 offset:1264 ; 4-byte Folded Spill
	v_fma_f64 v[18:19], v[18:19], v[42:43], v[16:17]
	s_waitcnt lgkmcnt(10)
	v_mul_f64 v[16:17], v[14:15], v[34:35]
	v_fma_f64 v[16:17], v[12:13], v[32:33], -v[16:17]
	v_mul_f64 v[12:13], v[12:13], v[34:35]
	;; [unrolled: 10-line block ×3, first 2 shown]
	buffer_store_dword v28, off, s[40:43], 0 offset:1188 ; 4-byte Folded Spill
	s_nop 0
	buffer_store_dword v29, off, s[40:43], 0 offset:1192 ; 4-byte Folded Spill
	buffer_store_dword v30, off, s[40:43], 0 offset:1196 ; 4-byte Folded Spill
	;; [unrolled: 1-line block ×3, first 2 shown]
	v_fma_f64 v[8:9], v[10:11], v[28:29], v[8:9]
	global_load_dwordx4 v[28:31], v[26:27], off offset:752
	global_load_dwordx4 v[42:45], v[26:27], off offset:736
	s_waitcnt vmcnt(0) lgkmcnt(8)
	v_mul_f64 v[10:11], v[6:7], v[44:45]
	v_fma_f64 v[32:33], v[4:5], v[42:43], -v[10:11]
	v_mul_f64 v[4:5], v[4:5], v[44:45]
	buffer_store_dword v42, off, s[40:43], 0 offset:1268 ; 4-byte Folded Spill
	s_nop 0
	buffer_store_dword v43, off, s[40:43], 0 offset:1272 ; 4-byte Folded Spill
	buffer_store_dword v44, off, s[40:43], 0 offset:1276 ; 4-byte Folded Spill
	;; [unrolled: 1-line block ×3, first 2 shown]
	v_fma_f64 v[34:35], v[6:7], v[42:43], v[4:5]
	s_waitcnt lgkmcnt(7)
	v_mul_f64 v[4:5], v[2:3], v[30:31]
	v_fma_f64 v[144:145], v[0:1], v[28:29], -v[4:5]
	v_mul_f64 v[0:1], v[0:1], v[30:31]
	buffer_store_dword v28, off, s[40:43], 0 offset:1236 ; 4-byte Folded Spill
	s_nop 0
	buffer_store_dword v29, off, s[40:43], 0 offset:1240 ; 4-byte Folded Spill
	buffer_store_dword v30, off, s[40:43], 0 offset:1244 ; 4-byte Folded Spill
	;; [unrolled: 1-line block ×3, first 2 shown]
	v_fma_f64 v[146:147], v[2:3], v[28:29], v[0:1]
	v_mul_lo_u16_sdwa v0, v210, s15 dst_sel:DWORD dst_unused:UNUSED_PAD src0_sel:BYTE_0 src1_sel:DWORD
	v_sub_u16_sdwa v1, v210, v0 dst_sel:DWORD dst_unused:UNUSED_PAD src0_sel:DWORD src1_sel:BYTE_1
	v_lshrrev_b16_e32 v1, 1, v1
	v_and_b32_e32 v1, 0x7f, v1
	v_add_u16_sdwa v0, v1, v0 dst_sel:DWORD dst_unused:UNUSED_PAD src0_sel:DWORD src1_sel:BYTE_1
	v_lshrrev_b16_e32 v38, 5, v0
	v_mul_lo_u16_e32 v0, 45, v38
	v_sub_u16_e32 v0, v210, v0
	v_and_b32_e32 v39, 0xff, v0
	v_mad_u64_u32 v[42:43], s[18:19], v39, s14, v[40:41]
	global_load_dwordx4 v[44:47], v[42:43], off offset:720
	global_load_dwordx4 v[68:71], v[42:43], off offset:704
	;; [unrolled: 1-line block ×4, first 2 shown]
	s_mov_b32 s18, 0x37e14327
	s_mov_b32 s19, 0x3fe948f6
	s_waitcnt vmcnt(3) lgkmcnt(2)
	v_mul_f64 v[28:29], v[74:75], v[46:47]
	v_mul_f64 v[30:31], v[72:73], v[46:47]
	s_waitcnt vmcnt(1)
	v_mul_f64 v[4:5], v[136:137], v[78:79]
	v_mul_f64 v[26:27], v[80:81], v[70:71]
	s_waitcnt vmcnt(0)
	v_mul_f64 v[2:3], v[140:141], v[86:87]
	v_mul_f64 v[0:1], v[142:143], v[86:87]
	v_fma_f64 v[28:29], v[72:73], v[44:45], -v[28:29]
	buffer_store_dword v44, off, s[40:43], 0 offset:1300 ; 4-byte Folded Spill
	s_nop 0
	buffer_store_dword v45, off, s[40:43], 0 offset:1304 ; 4-byte Folded Spill
	buffer_store_dword v46, off, s[40:43], 0 offset:1308 ; 4-byte Folded Spill
	;; [unrolled: 1-line block ×3, first 2 shown]
	v_fma_f64 v[10:11], v[138:139], v[76:77], v[4:5]
	v_mul_f64 v[4:5], v[82:83], v[70:71]
	v_fma_f64 v[26:27], v[82:83], v[68:69], v[26:27]
	v_fma_f64 v[6:7], v[142:143], v[84:85], v[2:3]
	v_mul_f64 v[2:3], v[138:139], v[78:79]
	v_fma_f64 v[0:1], v[140:141], v[84:85], -v[0:1]
	v_fma_f64 v[4:5], v[80:81], v[68:69], -v[4:5]
	;; [unrolled: 1-line block ×3, first 2 shown]
	v_fma_f64 v[30:31], v[74:75], v[44:45], v[30:31]
	global_load_dwordx4 v[72:75], v[42:43], off offset:752
	global_load_dwordx4 v[80:83], v[42:43], off offset:736
	s_waitcnt vmcnt(0) lgkmcnt(1)
	v_mul_f64 v[42:43], v[134:135], v[82:83]
	v_fma_f64 v[136:137], v[132:133], v[80:81], -v[42:43]
	v_mul_f64 v[42:43], v[132:133], v[82:83]
	v_fma_f64 v[132:133], v[134:135], v[80:81], v[42:43]
	s_waitcnt lgkmcnt(0)
	v_mul_f64 v[42:43], v[130:131], v[74:75]
	v_fma_f64 v[134:135], v[128:129], v[72:73], -v[42:43]
	v_mul_f64 v[42:43], v[128:129], v[74:75]
	v_fma_f64 v[138:139], v[130:131], v[72:73], v[42:43]
	v_mul_lo_u16_sdwa v42, v214, s15 dst_sel:DWORD dst_unused:UNUSED_PAD src0_sel:BYTE_0 src1_sel:DWORD
	v_sub_u16_sdwa v43, v214, v42 dst_sel:DWORD dst_unused:UNUSED_PAD src0_sel:DWORD src1_sel:BYTE_1
	v_lshrrev_b16_e32 v43, 1, v43
	v_and_b32_e32 v43, 0x7f, v43
	v_add_u16_sdwa v42, v43, v42 dst_sel:DWORD dst_unused:UNUSED_PAD src0_sel:DWORD src1_sel:BYTE_1
	v_lshrrev_b16_e32 v42, 5, v42
	v_mul_lo_u16_e32 v42, 45, v42
	v_sub_u16_e32 v42, v214, v42
	v_and_b32_e32 v140, 0xff, v42
	v_mad_u64_u32 v[40:41], s[14:15], v140, s14, v[40:41]
	buffer_store_dword v42, off, s[40:43], 0 offset:1332 ; 4-byte Folded Spill
	global_load_dwordx4 v[44:47], v[40:41], off offset:720
	global_load_dwordx4 v[48:51], v[40:41], off offset:704
	;; [unrolled: 1-line block ×4, first 2 shown]
	s_mov_b32 s14, 0x36b3c0b5
	s_mov_b32 s15, 0x3fac98ee
	s_waitcnt vmcnt(0)
	v_mul_f64 v[42:43], v[118:119], v[58:59]
	v_fma_f64 v[128:129], v[116:117], v[56:57], -v[42:43]
	v_mul_f64 v[42:43], v[116:117], v[58:59]
	buffer_store_dword v56, off, s[40:43], 0 offset:1384 ; 4-byte Folded Spill
	s_nop 0
	buffer_store_dword v57, off, s[40:43], 0 offset:1388 ; 4-byte Folded Spill
	buffer_store_dword v58, off, s[40:43], 0 offset:1392 ; 4-byte Folded Spill
	;; [unrolled: 1-line block ×3, first 2 shown]
	v_add_f64 v[58:59], v[150:151], -v[164:165]
	v_fma_f64 v[130:131], v[118:119], v[56:57], v[42:43]
	v_mul_f64 v[42:43], v[122:123], v[54:55]
	v_add_f64 v[56:57], v[156:157], v[166:167]
	v_fma_f64 v[116:117], v[120:121], v[52:53], -v[42:43]
	v_mul_f64 v[42:43], v[120:121], v[54:55]
	buffer_store_dword v52, off, s[40:43], 0 offset:1368 ; 4-byte Folded Spill
	s_nop 0
	buffer_store_dword v53, off, s[40:43], 0 offset:1372 ; 4-byte Folded Spill
	buffer_store_dword v54, off, s[40:43], 0 offset:1376 ; 4-byte Folded Spill
	;; [unrolled: 1-line block ×3, first 2 shown]
	v_add_f64 v[54:55], v[150:151], v[164:165]
	v_fma_f64 v[120:121], v[122:123], v[52:53], v[42:43]
	v_mul_f64 v[42:43], v[114:115], v[50:51]
	v_add_f64 v[52:53], v[154:155], -v[170:171]
	v_add_f64 v[122:123], v[158:159], v[162:163]
	v_fma_f64 v[118:119], v[112:113], v[48:49], -v[42:43]
	v_mul_f64 v[42:43], v[112:113], v[50:51]
	buffer_store_dword v48, off, s[40:43], 0 offset:1352 ; 4-byte Folded Spill
	s_nop 0
	buffer_store_dword v49, off, s[40:43], 0 offset:1356 ; 4-byte Folded Spill
	buffer_store_dword v50, off, s[40:43], 0 offset:1360 ; 4-byte Folded Spill
	;; [unrolled: 1-line block ×3, first 2 shown]
	v_add_f64 v[50:51], v[148:149], -v[168:169]
	v_fma_f64 v[112:113], v[114:115], v[48:49], v[42:43]
	v_mul_f64 v[42:43], v[94:95], v[46:47]
	v_fma_f64 v[114:115], v[92:93], v[44:45], -v[42:43]
	v_mul_f64 v[42:43], v[92:93], v[46:47]
	buffer_store_dword v44, off, s[40:43], 0 offset:1336 ; 4-byte Folded Spill
	s_nop 0
	buffer_store_dword v45, off, s[40:43], 0 offset:1340 ; 4-byte Folded Spill
	buffer_store_dword v46, off, s[40:43], 0 offset:1344 ; 4-byte Folded Spill
	;; [unrolled: 1-line block ×3, first 2 shown]
	v_fma_f64 v[92:93], v[94:95], v[44:45], v[42:43]
	global_load_dwordx4 v[46:49], v[40:41], off offset:752
	global_load_dwordx4 v[42:45], v[40:41], off offset:736
	s_waitcnt vmcnt(0)
	v_mul_f64 v[40:41], v[90:91], v[44:45]
	v_fma_f64 v[94:95], v[88:89], v[42:43], -v[40:41]
	v_mul_f64 v[40:41], v[88:89], v[44:45]
	buffer_store_dword v42, off, s[40:43], 0 offset:1416 ; 4-byte Folded Spill
	s_nop 0
	buffer_store_dword v43, off, s[40:43], 0 offset:1420 ; 4-byte Folded Spill
	buffer_store_dword v44, off, s[40:43], 0 offset:1424 ; 4-byte Folded Spill
	;; [unrolled: 1-line block ×3, first 2 shown]
	v_mul_f64 v[44:45], v[124:125], v[48:49]
	v_add_f64 v[88:89], v[156:157], -v[166:167]
	v_fma_f64 v[40:41], v[90:91], v[42:43], v[40:41]
	v_mul_f64 v[42:43], v[126:127], v[48:49]
	v_add_f64 v[90:91], v[152:153], v[160:161]
	v_fma_f64 v[42:43], v[124:125], v[46:47], -v[42:43]
	buffer_store_dword v46, off, s[40:43], 0 offset:1400 ; 4-byte Folded Spill
	s_nop 0
	buffer_store_dword v47, off, s[40:43], 0 offset:1404 ; 4-byte Folded Spill
	buffer_store_dword v48, off, s[40:43], 0 offset:1408 ; 4-byte Folded Spill
	;; [unrolled: 1-line block ×3, first 2 shown]
	v_add_f64 v[48:49], v[154:155], v[170:171]
	v_add_f64 v[124:125], v[160:161], -v[152:153]
	v_add_f64 v[152:153], v[56:57], -v[48:49]
	v_add_f64 v[154:155], v[124:125], v[58:59]
	v_fma_f64 v[44:45], v[126:127], v[46:47], v[44:45]
	v_add_f64 v[46:47], v[148:149], v[168:169]
	v_add_f64 v[126:127], v[162:163], -v[158:159]
	v_add_f64 v[148:149], v[56:57], v[48:49]
	v_add_f64 v[48:49], v[48:49], -v[122:123]
	v_add_f64 v[56:57], v[122:123], -v[56:57]
	;; [unrolled: 1-line block ×5, first 2 shown]
	v_add_f64 v[141:142], v[54:55], v[46:47]
	v_add_f64 v[150:151], v[54:55], -v[46:47]
	v_add_f64 v[46:47], v[46:47], -v[90:91]
	;; [unrolled: 1-line block ×3, first 2 shown]
	v_add_f64 v[156:157], v[126:127], v[88:89]
	v_add_f64 v[160:161], v[126:127], -v[88:89]
	v_add_f64 v[122:123], v[122:123], v[148:149]
	v_add_f64 v[124:125], v[50:51], -v[124:125]
	;; [unrolled: 2-line block ×3, first 2 shown]
	v_add_f64 v[50:51], v[154:155], v[50:51]
	v_mul_f64 v[46:47], v[46:47], s[18:19]
	v_add_f64 v[52:53], v[156:157], v[52:53]
	v_mul_f64 v[48:49], v[48:49], s[18:19]
	;; [unrolled: 2-line block ×4, first 2 shown]
	v_mul_f64 v[148:149], v[158:159], s[22:23]
	v_mul_f64 v[154:155], v[160:161], s[22:23]
	;; [unrolled: 1-line block ×4, first 2 shown]
	v_fma_f64 v[122:123], v[122:123], s[24:25], v[90:91]
	v_fma_f64 v[54:55], v[54:55], s[14:15], v[46:47]
	v_fma_f64 v[141:142], v[141:142], s[24:25], v[88:89]
	v_fma_f64 v[56:57], v[56:57], s[14:15], v[48:49]
	v_fma_f64 v[108:109], v[150:151], s[26:27], -v[108:109]
	v_fma_f64 v[110:111], v[152:153], s[26:27], -v[110:111]
	;; [unrolled: 1-line block ×4, first 2 shown]
	v_fma_f64 v[150:151], v[124:125], s[34:35], v[148:149]
	v_fma_f64 v[152:153], v[126:127], s[34:35], v[154:155]
	v_fma_f64 v[58:59], v[58:59], s[20:21], -v[148:149]
	v_fma_f64 v[148:149], v[162:163], s[20:21], -v[154:155]
	;; [unrolled: 1-line block ×4, first 2 shown]
	v_add_f64 v[54:55], v[54:55], v[141:142]
	v_add_f64 v[156:157], v[108:109], v[141:142]
	;; [unrolled: 1-line block ×4, first 2 shown]
	v_fma_f64 v[141:142], v[50:51], s[28:29], v[150:151]
	v_fma_f64 v[150:151], v[52:53], s[28:29], v[152:153]
	;; [unrolled: 1-line block ×6, first 2 shown]
	v_add_f64 v[56:57], v[56:57], v[122:123]
	v_add_f64 v[158:159], v[110:111], v[122:123]
	;; [unrolled: 1-line block ×3, first 2 shown]
	v_add_f64 v[164:165], v[54:55], -v[150:151]
	v_add_f64 v[152:153], v[156:157], -v[148:149]
	v_add_f64 v[124:125], v[48:49], -v[50:51]
	v_add_f64 v[122:123], v[52:53], v[46:47]
	v_add_f64 v[160:161], v[46:47], -v[52:53]
	v_add_f64 v[162:163], v[50:51], v[48:49]
	v_add_f64 v[46:47], v[20:21], v[144:145]
	;; [unrolled: 1-line block ×5, first 2 shown]
	v_add_f64 v[20:21], v[20:21], -v[144:145]
	v_add_f64 v[24:25], v[24:25], -v[146:147]
	;; [unrolled: 1-line block ×4, first 2 shown]
	v_add_f64 v[32:33], v[16:17], v[14:15]
	v_add_f64 v[34:35], v[12:13], v[8:9]
	v_add_f64 v[14:15], v[14:15], -v[16:17]
	v_add_f64 v[8:9], v[8:9], -v[12:13]
	v_add_f64 v[12:13], v[50:51], v[46:47]
	v_add_f64 v[16:17], v[52:53], v[48:49]
	v_add_f64 v[110:111], v[56:57], -v[141:142]
	v_add_f64 v[154:155], v[58:59], v[158:159]
	v_add_f64 v[158:159], v[158:159], -v[58:59]
	;; [unrolled: 2-line block ×3, first 2 shown]
	v_add_f64 v[56:57], v[52:53], -v[48:49]
	v_add_f64 v[46:47], v[46:47], -v[32:33]
	;; [unrolled: 1-line block ×5, first 2 shown]
	v_add_f64 v[58:59], v[14:15], v[22:23]
	v_add_f64 v[126:127], v[8:9], v[18:19]
	v_add_f64 v[141:142], v[14:15], -v[22:23]
	v_add_f64 v[143:144], v[8:9], -v[18:19]
	;; [unrolled: 1-line block ×4, first 2 shown]
	v_add_f64 v[12:13], v[32:33], v[12:13]
	v_add_f64 v[16:17], v[34:35], v[16:17]
	v_add_f64 v[14:15], v[20:21], -v[14:15]
	v_add_f64 v[8:9], v[24:25], -v[8:9]
	v_add_f64 v[20:21], v[58:59], v[20:21]
	v_add_f64 v[24:25], v[126:127], v[24:25]
	v_mul_f64 v[46:47], v[46:47], s[18:19]
	v_mul_f64 v[48:49], v[48:49], s[18:19]
	v_add_f64 v[32:33], v[104:105], v[12:13]
	v_add_f64 v[34:35], v[106:107], v[16:17]
	v_mul_f64 v[58:59], v[50:51], s[14:15]
	v_mul_f64 v[104:105], v[52:53], s[14:15]
	;; [unrolled: 1-line block ×6, first 2 shown]
	v_fma_f64 v[12:13], v[12:13], s[24:25], v[32:33]
	v_fma_f64 v[16:17], v[16:17], s[24:25], v[34:35]
	;; [unrolled: 1-line block ×4, first 2 shown]
	v_fma_f64 v[58:59], v[54:55], s[26:27], -v[58:59]
	v_fma_f64 v[104:105], v[56:57], s[26:27], -v[104:105]
	;; [unrolled: 1-line block ×4, first 2 shown]
	v_fma_f64 v[54:55], v[14:15], s[34:35], v[106:107]
	v_fma_f64 v[56:57], v[8:9], s[34:35], v[126:127]
	v_fma_f64 v[14:15], v[14:15], s[36:37], -v[141:142]
	v_fma_f64 v[8:9], v[8:9], s[36:37], -v[143:144]
	;; [unrolled: 1-line block ×4, first 2 shown]
	v_add_f64 v[50:51], v[50:51], v[12:13]
	v_add_f64 v[52:53], v[52:53], v[16:17]
	;; [unrolled: 1-line block ×6, first 2 shown]
	v_fma_f64 v[14:15], v[20:21], s[28:29], v[14:15]
	v_fma_f64 v[8:9], v[24:25], s[28:29], v[8:9]
	;; [unrolled: 1-line block ×6, first 2 shown]
	v_add_f64 v[20:21], v[26:27], v[30:31]
	v_add_f64 v[156:157], v[148:149], v[156:157]
	v_add_f64 v[170:171], v[16:17], -v[14:15]
	v_add_f64 v[168:169], v[8:9], v[12:13]
	v_add_f64 v[181:182], v[12:13], -v[8:9]
	v_add_f64 v[183:184], v[14:15], v[16:17]
	v_add_f64 v[8:9], v[0:1], v[134:135]
	;; [unrolled: 1-line block ×5, first 2 shown]
	v_add_f64 v[173:174], v[58:59], -v[18:19]
	v_add_f64 v[175:176], v[22:23], v[126:127]
	v_add_f64 v[177:178], v[18:19], v[58:59]
	v_add_f64 v[179:180], v[126:127], -v[22:23]
	v_add_f64 v[0:1], v[0:1], -v[134:135]
	;; [unrolled: 1-line block ×5, first 2 shown]
	v_add_f64 v[18:19], v[4:5], v[28:29]
	v_add_f64 v[4:5], v[28:29], -v[4:5]
	v_add_f64 v[22:23], v[30:31], -v[26:27]
	v_add_f64 v[24:25], v[14:15], v[8:9]
	v_add_f64 v[26:27], v[16:17], v[12:13]
	;; [unrolled: 1-line block ×3, first 2 shown]
	v_add_f64 v[106:107], v[52:53], -v[46:47]
	v_add_f64 v[185:186], v[50:51], -v[48:49]
	v_add_f64 v[187:188], v[46:47], v[52:53]
	v_add_f64 v[46:47], v[14:15], -v[8:9]
	v_add_f64 v[48:49], v[16:17], -v[12:13]
	;; [unrolled: 1-line block ×6, first 2 shown]
	v_add_f64 v[28:29], v[4:5], v[2:3]
	v_add_f64 v[30:31], v[22:23], v[10:11]
	v_add_f64 v[50:51], v[4:5], -v[2:3]
	v_add_f64 v[52:53], v[22:23], -v[10:11]
	;; [unrolled: 1-line block ×4, first 2 shown]
	v_add_f64 v[18:19], v[18:19], v[24:25]
	v_add_f64 v[20:21], v[20:21], v[26:27]
	v_add_f64 v[4:5], v[0:1], -v[4:5]
	v_add_f64 v[22:23], v[6:7], -v[22:23]
	v_add_f64 v[0:1], v[28:29], v[0:1]
	v_add_f64 v[6:7], v[30:31], v[6:7]
	v_mul_f64 v[8:9], v[8:9], s[18:19]
	v_mul_f64 v[12:13], v[12:13], s[18:19]
	v_add_f64 v[28:29], v[100:101], v[18:19]
	v_add_f64 v[30:31], v[102:103], v[20:21]
	v_mul_f64 v[24:25], v[14:15], s[14:15]
	v_mul_f64 v[26:27], v[16:17], s[14:15]
	;; [unrolled: 1-line block ×6, first 2 shown]
	v_fma_f64 v[18:19], v[18:19], s[24:25], v[28:29]
	v_fma_f64 v[20:21], v[20:21], s[24:25], v[30:31]
	;; [unrolled: 1-line block ×4, first 2 shown]
	v_fma_f64 v[24:25], v[46:47], s[26:27], -v[24:25]
	v_fma_f64 v[26:27], v[48:49], s[26:27], -v[26:27]
	;; [unrolled: 1-line block ×4, first 2 shown]
	v_fma_f64 v[46:47], v[4:5], s[34:35], v[50:51]
	v_fma_f64 v[48:49], v[22:23], s[34:35], v[52:53]
	v_fma_f64 v[2:3], v[2:3], s[20:21], -v[50:51]
	v_fma_f64 v[10:11], v[10:11], s[20:21], -v[52:53]
	;; [unrolled: 1-line block ×4, first 2 shown]
	v_add_f64 v[14:15], v[14:15], v[18:19]
	v_add_f64 v[24:25], v[24:25], v[18:19]
	;; [unrolled: 1-line block ×5, first 2 shown]
	v_fma_f64 v[18:19], v[0:1], s[28:29], v[46:47]
	v_fma_f64 v[2:3], v[0:1], s[28:29], v[2:3]
	v_fma_f64 v[10:11], v[6:7], s[28:29], v[10:11]
	v_fma_f64 v[0:1], v[0:1], s[28:29], v[4:5]
	v_fma_f64 v[4:5], v[6:7], s[28:29], v[22:23]
	v_add_f64 v[16:17], v[16:17], v[20:21]
	v_fma_f64 v[20:21], v[6:7], s[28:29], v[48:49]
	v_add_f64 v[22:23], v[92:93], -v[112:113]
	v_add_f64 v[6:7], v[130:131], -v[44:45]
	v_add_f64 v[138:139], v[2:3], v[26:27]
	v_add_f64 v[136:137], v[24:25], -v[10:11]
	v_add_f64 v[134:135], v[12:13], -v[0:1]
	v_add_f64 v[132:133], v[4:5], v[8:9]
	v_add_f64 v[189:190], v[10:11], v[24:25]
	v_add_f64 v[191:192], v[26:27], -v[2:3]
	v_add_f64 v[195:196], v[8:9], -v[4:5]
	v_add_f64 v[197:198], v[0:1], v[12:13]
	v_add_f64 v[0:1], v[128:129], v[42:43]
	;; [unrolled: 1-line block ×6, first 2 shown]
	v_add_f64 v[102:103], v[16:17], -v[18:19]
	v_add_f64 v[199:200], v[14:15], -v[20:21]
	v_add_f64 v[201:202], v[18:19], v[16:17]
	v_add_f64 v[12:13], v[116:117], -v[94:95]
	v_add_f64 v[14:15], v[120:121], -v[40:41]
	v_add_f64 v[16:17], v[118:119], v[114:115]
	v_add_f64 v[18:19], v[112:113], v[92:93]
	v_add_f64 v[20:21], v[114:115], -v[118:119]
	v_add_f64 v[24:25], v[8:9], v[0:1]
	v_add_f64 v[26:27], v[10:11], v[2:3]
	v_add_f64 v[4:5], v[128:129], -v[42:43]
	v_add_f64 v[40:41], v[8:9], -v[0:1]
	;; [unrolled: 1-line block ×7, first 2 shown]
	v_add_f64 v[0:1], v[20:21], v[12:13]
	v_add_f64 v[2:3], v[22:23], v[14:15]
	v_add_f64 v[48:49], v[20:21], -v[12:13]
	v_add_f64 v[50:51], v[22:23], -v[14:15]
	v_add_f64 v[16:17], v[16:17], v[24:25]
	v_add_f64 v[18:19], v[18:19], v[26:27]
	v_add_f64 v[12:13], v[12:13], -v[4:5]
	v_add_f64 v[14:15], v[14:15], -v[6:7]
	;; [unrolled: 1-line block ×4, first 2 shown]
	v_add_f64 v[26:27], v[0:1], v[4:5]
	v_add_f64 v[52:53], v[2:3], v[6:7]
	;; [unrolled: 1-line block ×4, first 2 shown]
	v_mul_f64 v[4:5], v[44:45], s[18:19]
	v_mul_f64 v[6:7], v[46:47], s[18:19]
	;; [unrolled: 1-line block ×8, first 2 shown]
	v_fma_f64 v[16:17], v[16:17], s[24:25], v[0:1]
	v_fma_f64 v[18:19], v[18:19], s[24:25], v[2:3]
	v_fma_f64 v[8:9], v[8:9], s[14:15], v[4:5]
	v_fma_f64 v[10:11], v[10:11], s[14:15], v[6:7]
	v_fma_f64 v[56:57], v[20:21], s[34:35], v[46:47]
	v_fma_f64 v[58:59], v[22:23], s[34:35], v[48:49]
	v_fma_f64 v[24:25], v[40:41], s[26:27], -v[24:25]
	v_fma_f64 v[44:45], v[42:43], s[26:27], -v[44:45]
	;; [unrolled: 1-line block ×8, first 2 shown]
	v_add_f64 v[4:5], v[8:9], v[16:17]
	v_add_f64 v[10:11], v[10:11], v[18:19]
	v_fma_f64 v[14:15], v[26:27], s[28:29], v[56:57]
	v_fma_f64 v[12:13], v[52:53], s[28:29], v[58:59]
	v_add_f64 v[6:7], v[24:25], v[16:17]
	v_add_f64 v[20:21], v[44:45], v[18:19]
	;; [unrolled: 1-line block ×4, first 2 shown]
	v_fma_f64 v[24:25], v[26:27], s[28:29], v[46:47]
	v_fma_f64 v[16:17], v[52:53], s[28:29], v[48:49]
	;; [unrolled: 1-line block ×4, first 2 shown]
	v_add_f64 v[40:41], v[4:5], -v[12:13]
	v_add_f64 v[42:43], v[14:15], v[10:11]
	buffer_store_dword v40, off, s[40:43], 0 offset:4 ; 4-byte Folded Spill
	s_nop 0
	buffer_store_dword v41, off, s[40:43], 0 offset:8 ; 4-byte Folded Spill
	buffer_store_dword v42, off, s[40:43], 0 offset:12 ; 4-byte Folded Spill
	;; [unrolled: 1-line block ×3, first 2 shown]
	v_add_f64 v[144:145], v[16:17], v[6:7]
	v_add_f64 v[146:147], v[20:21], -v[24:25]
	v_add_f64 v[148:149], v[8:9], -v[22:23]
	v_add_f64 v[150:151], v[26:27], v[18:19]
	v_mov_b32_e32 v40, 0x13b
	v_cndmask_b32_e32 v40, 0, v40, vcc
	v_add_lshl_u32 v40, v172, v40, 4
	s_waitcnt lgkmcnt(0)
	; wave barrier
	ds_write_b128 v40, v[88:91]
	ds_write_b128 v40, v[108:111] offset:720
	ds_write_b128 v40, v[122:125] offset:1440
	;; [unrolled: 1-line block ×5, first 2 shown]
	buffer_store_dword v40, off, s[40:43], 0 offset:1316 ; 4-byte Folded Spill
	ds_write_b128 v40, v[164:167] offset:4320
	ds_write_b128 v36, v[32:35]
	ds_write_b128 v36, v[104:107] offset:720
	ds_write_b128 v36, v[168:171] offset:1440
	;; [unrolled: 1-line block ×5, first 2 shown]
	v_mul_u32_u24_e32 v32, 0x13b, v38
	v_add_lshl_u32 v32, v32, v39, 4
	buffer_store_dword v36, off, s[40:43], 0 offset:1320 ; 4-byte Folded Spill
	ds_write_b128 v36, v[185:188] offset:4320
	ds_write_b128 v32, v[28:31]
	ds_write_b128 v32, v[100:103] offset:720
	ds_write_b128 v32, v[132:135] offset:1440
	ds_write_b128 v32, v[136:139] offset:2160
	ds_write_b128 v32, v[189:192] offset:2880
	ds_write_b128 v32, v[195:198] offset:3600
	buffer_store_dword v32, off, s[40:43], 0 offset:1324 ; 4-byte Folded Spill
	ds_write_b128 v32, v[199:202] offset:4320
	s_and_saveexec_b64 s[14:15], s[2:3]
	s_cbranch_execz .LBB0_15
; %bb.14:
	v_add_f64 v[14:15], v[10:11], -v[14:15]
	v_add_f64 v[12:13], v[12:13], v[4:5]
	v_add_f64 v[20:21], v[24:25], v[20:21]
	v_add_f64 v[24:25], v[18:19], -v[26:27]
	v_add_f64 v[22:23], v[22:23], v[8:9]
	v_add_f64 v[18:19], v[6:7], -v[16:17]
	v_lshlrev_b32_e32 v4, 4, v140
	ds_write_b128 v4, v[0:3] offset:20160
	ds_write_b128 v4, v[12:15] offset:20880
	;; [unrolled: 1-line block ×6, first 2 shown]
	buffer_load_dword v0, off, s[40:43], 0 offset:4 ; 4-byte Folded Reload
	buffer_load_dword v1, off, s[40:43], 0 offset:8 ; 4-byte Folded Reload
	;; [unrolled: 1-line block ×4, first 2 shown]
	s_waitcnt vmcnt(0)
	ds_write_b128 v4, v[0:3] offset:24480
.LBB0_15:
	s_or_b64 exec, exec, s[14:15]
	v_mov_b32_e32 v0, s17
	v_addc_co_u32_e64 v213, vcc, 0, v0, s[6:7]
	v_lshlrev_b32_e32 v36, 6, v193
	v_add_co_u32_e32 v36, vcc, s4, v36
	v_mov_b32_e32 v42, s5
	v_addc_co_u32_e32 v37, vcc, 0, v42, vcc
	s_movk_i32 s6, 0x1380
	v_add_co_u32_e32 v40, vcc, s6, v36
	v_addc_co_u32_e32 v41, vcc, 0, v37, vcc
	s_movk_i32 s5, 0x1000
	v_add_co_u32_e32 v36, vcc, s5, v36
	s_waitcnt lgkmcnt(0)
	; wave barrier
	s_waitcnt lgkmcnt(0)
	ds_read_b128 v[180:183], v212
	ds_read_b128 v[0:3], v212 offset:5040
	ds_read_b128 v[4:7], v212 offset:10080
	;; [unrolled: 1-line block ×24, first 2 shown]
	buffer_store_dword v193, off, s[40:43], 0 offset:32 ; 4-byte Folded Spill
	v_addc_co_u32_e32 v37, vcc, 0, v37, vcc
	global_load_dwordx4 v[36:39], v[36:37], off offset:896
	s_nop 0
	global_load_dwordx4 v[88:91], v[40:41], off offset:48
	global_load_dwordx4 v[92:95], v[40:41], off offset:32
	;; [unrolled: 1-line block ×3, first 2 shown]
	s_mov_b32 s14, 0x134454ff
	s_mov_b32 s15, 0x3fee6f0e
	;; [unrolled: 1-line block ×5, first 2 shown]
	s_waitcnt vmcnt(3) lgkmcnt(14)
	v_mul_f64 v[40:41], v[2:3], v[38:39]
	v_fma_f64 v[200:201], v[0:1], v[36:37], -v[40:41]
	v_mul_f64 v[0:1], v[0:1], v[38:39]
	v_add_f64 v[40:41], v[180:181], v[200:201]
	v_fma_f64 v[188:189], v[2:3], v[36:37], v[0:1]
	s_waitcnt vmcnt(0)
	v_mul_f64 v[0:1], v[6:7], v[218:219]
	v_fma_f64 v[242:243], v[4:5], v[216:217], -v[0:1]
	v_mul_f64 v[0:1], v[4:5], v[218:219]
	v_add_f64 v[40:41], v[40:41], v[242:243]
	v_fma_f64 v[190:191], v[6:7], v[216:217], v[0:1]
	v_mul_f64 v[0:1], v[10:11], v[94:95]
	v_add_f64 v[48:49], v[200:201], -v[242:243]
	v_fma_f64 v[244:245], v[8:9], v[92:93], -v[0:1]
	v_mul_f64 v[0:1], v[8:9], v[94:95]
	v_add_f64 v[40:41], v[40:41], v[244:245]
	v_fma_f64 v[192:193], v[10:11], v[92:93], v[0:1]
	v_mul_f64 v[0:1], v[14:15], v[90:91]
	v_add_f64 v[46:47], v[190:191], -v[192:193]
	v_fma_f64 v[246:247], v[12:13], v[88:89], -v[0:1]
	v_mul_f64 v[0:1], v[12:13], v[90:91]
	v_lshlrev_b32_e32 v12, 6, v215
	v_add_f64 v[50:51], v[246:247], -v[244:245]
	v_fma_f64 v[196:197], v[14:15], v[88:89], v[0:1]
	v_lshlrev_b32_e32 v0, 6, v194
	v_add_co_u32_e32 v2, vcc, s4, v0
	v_addc_co_u32_e32 v3, vcc, 0, v42, vcc
	v_add_co_u32_e32 v0, vcc, s6, v2
	v_addc_co_u32_e32 v1, vcc, 0, v3, vcc
	;; [unrolled: 2-line block ×3, first 2 shown]
	global_load_dwordx4 v[248:251], v[2:3], off offset:896
	global_load_dwordx4 v[220:223], v[0:1], off offset:48
	;; [unrolled: 1-line block ×4, first 2 shown]
	v_add_f64 v[48:49], v[48:49], v[50:51]
	v_add_f64 v[50:51], v[244:245], -v[246:247]
	s_waitcnt vmcnt(3)
	v_mul_f64 v[0:1], v[18:19], v[250:251]
	v_fma_f64 v[194:195], v[16:17], v[248:249], -v[0:1]
	v_mul_f64 v[0:1], v[16:17], v[250:251]
	v_fma_f64 v[202:203], v[18:19], v[248:249], v[0:1]
	s_waitcnt vmcnt(0)
	v_mul_f64 v[0:1], v[22:23], v[254:255]
	v_fma_f64 v[198:199], v[20:21], v[252:253], -v[0:1]
	v_mul_f64 v[0:1], v[20:21], v[254:255]
	v_fma_f64 v[204:205], v[22:23], v[252:253], v[0:1]
	v_mul_f64 v[0:1], v[26:27], v[230:231]
	v_fma_f64 v[224:225], v[24:25], v[228:229], -v[0:1]
	v_mul_f64 v[0:1], v[24:25], v[230:231]
	v_fma_f64 v[206:207], v[26:27], v[228:229], v[0:1]
	;; [unrolled: 4-line block ×3, first 2 shown]
	v_lshlrev_b32_e32 v0, 6, v210
	v_add_co_u32_e32 v2, vcc, s4, v0
	v_addc_co_u32_e32 v3, vcc, 0, v42, vcc
	v_add_co_u32_e32 v0, vcc, s6, v2
	v_addc_co_u32_e32 v1, vcc, 0, v3, vcc
	;; [unrolled: 2-line block ×3, first 2 shown]
	global_load_dwordx4 v[104:107], v[2:3], off offset:896
	global_load_dwordx4 v[96:99], v[0:1], off offset:48
	global_load_dwordx4 v[100:103], v[0:1], off offset:32
	global_load_dwordx4 v[108:111], v[0:1], off offset:16
	s_waitcnt vmcnt(3) lgkmcnt(13)
	v_mul_f64 v[0:1], v[34:35], v[106:107]
	s_waitcnt vmcnt(0) lgkmcnt(12)
	v_mul_f64 v[2:3], v[114:115], v[110:111]
	v_fma_f64 v[210:211], v[32:33], v[104:105], -v[0:1]
	v_mul_f64 v[0:1], v[32:33], v[106:107]
	v_fma_f64 v[226:227], v[112:113], v[108:109], -v[2:3]
	v_mul_f64 v[2:3], v[112:113], v[110:111]
	v_fma_f64 v[0:1], v[34:35], v[104:105], v[0:1]
	v_fma_f64 v[4:5], v[114:115], v[108:109], v[2:3]
	s_waitcnt lgkmcnt(11)
	v_mul_f64 v[2:3], v[118:119], v[102:103]
	v_fma_f64 v[238:239], v[116:117], v[100:101], -v[2:3]
	v_mul_f64 v[2:3], v[116:117], v[102:103]
	v_fma_f64 v[234:235], v[118:119], v[100:101], v[2:3]
	s_waitcnt lgkmcnt(10)
	v_mul_f64 v[2:3], v[122:123], v[98:99]
	v_fma_f64 v[240:241], v[120:121], v[96:97], -v[2:3]
	v_mul_f64 v[2:3], v[120:121], v[98:99]
	v_fma_f64 v[236:237], v[122:123], v[96:97], v[2:3]
	v_lshlrev_b32_e32 v2, 6, v214
	v_add_co_u32_e32 v6, vcc, s4, v2
	v_addc_co_u32_e32 v7, vcc, 0, v42, vcc
	v_add_co_u32_e32 v2, vcc, s6, v6
	v_addc_co_u32_e32 v3, vcc, 0, v7, vcc
	;; [unrolled: 2-line block ×3, first 2 shown]
	global_load_dwordx4 v[116:119], v[6:7], off offset:896
	global_load_dwordx4 v[112:115], v[2:3], off offset:48
	global_load_dwordx4 v[120:123], v[2:3], off offset:32
	global_load_dwordx4 v[124:127], v[2:3], off offset:16
	v_add_co_u32_e32 v14, vcc, s4, v12
	v_addc_co_u32_e32 v15, vcc, 0, v42, vcc
	v_add_co_u32_e32 v12, vcc, s6, v14
	v_addc_co_u32_e32 v13, vcc, 0, v15, vcc
	;; [unrolled: 2-line block ×3, first 2 shown]
	v_add_f64 v[42:43], v[188:189], -v[196:197]
	s_mov_b32 s6, 0x4755a5e
	s_mov_b32 s7, 0x3fe2cf23
	;; [unrolled: 1-line block ×5, first 2 shown]
	s_waitcnt vmcnt(3) lgkmcnt(8)
	v_mul_f64 v[2:3], v[130:131], v[118:119]
	s_waitcnt vmcnt(2) lgkmcnt(5)
	v_mul_f64 v[10:11], v[142:143], v[114:115]
	s_waitcnt vmcnt(1)
	v_mul_f64 v[8:9], v[138:139], v[122:123]
	s_waitcnt vmcnt(0)
	v_mul_f64 v[6:7], v[134:135], v[126:127]
	v_fma_f64 v[20:21], v[128:129], v[116:117], -v[2:3]
	v_mul_f64 v[2:3], v[128:129], v[118:119]
	v_fma_f64 v[24:25], v[136:137], v[120:121], -v[8:9]
	v_fma_f64 v[22:23], v[132:133], v[124:125], -v[6:7]
	v_mul_f64 v[6:7], v[132:133], v[126:127]
	v_mul_f64 v[8:9], v[136:137], v[122:123]
	v_fma_f64 v[26:27], v[140:141], v[112:113], -v[10:11]
	v_mul_f64 v[10:11], v[140:141], v[114:115]
	v_fma_f64 v[2:3], v[130:131], v[116:117], v[2:3]
	v_fma_f64 v[6:7], v[134:135], v[124:125], v[6:7]
	;; [unrolled: 1-line block ×4, first 2 shown]
	global_load_dwordx4 v[136:139], v[14:15], off offset:896
	global_load_dwordx4 v[128:131], v[12:13], off offset:48
	;; [unrolled: 1-line block ×4, first 2 shown]
	s_waitcnt vmcnt(3) lgkmcnt(3)
	v_mul_f64 v[12:13], v[186:187], v[138:139]
	s_waitcnt vmcnt(2) lgkmcnt(0)
	v_mul_f64 v[18:19], v[170:171], v[130:131]
	s_waitcnt vmcnt(1)
	v_mul_f64 v[16:17], v[174:175], v[134:135]
	s_waitcnt vmcnt(0)
	v_mul_f64 v[14:15], v[178:179], v[142:143]
	v_fma_f64 v[28:29], v[184:185], v[136:137], -v[12:13]
	v_fma_f64 v[34:35], v[168:169], v[128:129], -v[18:19]
	v_mul_f64 v[18:19], v[168:169], v[130:131]
	v_add_f64 v[168:169], v[40:41], v[246:247]
	v_add_f64 v[40:41], v[242:243], v[244:245]
	v_fma_f64 v[32:33], v[172:173], v[132:133], -v[16:17]
	v_mul_f64 v[16:17], v[172:173], v[134:135]
	v_fma_f64 v[30:31], v[176:177], v[140:141], -v[14:15]
	v_mul_f64 v[14:15], v[176:177], v[142:143]
	v_mul_f64 v[12:13], v[184:185], v[138:139]
	v_fma_f64 v[18:19], v[170:171], v[128:129], v[18:19]
	v_fma_f64 v[40:41], v[40:41], -0.5, v[180:181]
	v_fma_f64 v[16:17], v[174:175], v[132:133], v[16:17]
	v_fma_f64 v[14:15], v[178:179], v[140:141], v[14:15]
	;; [unrolled: 1-line block ×9, first 2 shown]
	v_add_f64 v[40:41], v[200:201], v[246:247]
	v_add_f64 v[48:49], v[242:243], -v[200:201]
	v_fma_f64 v[40:41], v[40:41], -0.5, v[180:181]
	v_add_f64 v[48:49], v[48:49], v[50:51]
	v_add_f64 v[50:51], v[196:197], -v[192:193]
	v_fma_f64 v[44:45], v[46:47], s[16:17], v[40:41]
	v_fma_f64 v[40:41], v[46:47], s[14:15], v[40:41]
	v_add_f64 v[46:47], v[242:243], -v[244:245]
	v_fma_f64 v[44:45], v[42:43], s[6:7], v[44:45]
	v_fma_f64 v[40:41], v[42:43], s[18:19], v[40:41]
	v_add_f64 v[42:43], v[200:201], -v[246:247]
	v_fma_f64 v[184:185], v[48:49], s[4:5], v[44:45]
	v_fma_f64 v[180:181], v[48:49], s[4:5], v[40:41]
	v_add_f64 v[40:41], v[182:183], v[188:189]
	v_add_f64 v[48:49], v[188:189], -v[190:191]
	v_add_f64 v[40:41], v[40:41], v[190:191]
	v_add_f64 v[48:49], v[48:49], v[50:51]
	v_add_f64 v[50:51], v[192:193], -v[196:197]
	v_add_f64 v[40:41], v[40:41], v[192:193]
	v_add_f64 v[170:171], v[40:41], v[196:197]
	v_add_f64 v[40:41], v[190:191], v[192:193]
	v_fma_f64 v[40:41], v[40:41], -0.5, v[182:183]
	v_fma_f64 v[44:45], v[42:43], s[16:17], v[40:41]
	v_fma_f64 v[40:41], v[42:43], s[14:15], v[40:41]
	v_fma_f64 v[44:45], v[46:47], s[18:19], v[44:45]
	v_fma_f64 v[40:41], v[46:47], s[6:7], v[40:41]
	v_fma_f64 v[178:179], v[48:49], s[4:5], v[44:45]
	v_fma_f64 v[174:175], v[48:49], s[4:5], v[40:41]
	v_add_f64 v[40:41], v[188:189], v[196:197]
	v_add_f64 v[48:49], v[190:191], -v[188:189]
	v_fma_f64 v[40:41], v[40:41], -0.5, v[182:183]
	v_add_f64 v[48:49], v[48:49], v[50:51]
	v_add_f64 v[50:51], v[232:233], -v[224:225]
	v_fma_f64 v[44:45], v[46:47], s[14:15], v[40:41]
	v_fma_f64 v[40:41], v[46:47], s[16:17], v[40:41]
	v_add_f64 v[46:47], v[204:205], -v[206:207]
	v_fma_f64 v[44:45], v[42:43], s[18:19], v[44:45]
	v_fma_f64 v[40:41], v[42:43], s[6:7], v[40:41]
	v_add_f64 v[42:43], v[202:203], -v[208:209]
	v_fma_f64 v[186:187], v[48:49], s[4:5], v[44:45]
	v_fma_f64 v[182:183], v[48:49], s[4:5], v[40:41]
	v_add_f64 v[40:41], v[164:165], v[194:195]
	v_add_f64 v[48:49], v[194:195], -v[198:199]
	v_add_f64 v[40:41], v[40:41], v[198:199]
	v_add_f64 v[48:49], v[48:49], v[50:51]
	v_add_f64 v[50:51], v[224:225], -v[232:233]
	v_add_f64 v[40:41], v[40:41], v[224:225]
	v_add_f64 v[188:189], v[40:41], v[232:233]
	v_add_f64 v[40:41], v[198:199], v[224:225]
	v_fma_f64 v[40:41], v[40:41], -0.5, v[164:165]
	v_fma_f64 v[44:45], v[42:43], s[14:15], v[40:41]
	v_fma_f64 v[40:41], v[42:43], s[16:17], v[40:41]
	v_fma_f64 v[44:45], v[46:47], s[6:7], v[44:45]
	v_fma_f64 v[40:41], v[46:47], s[18:19], v[40:41]
	v_fma_f64 v[196:197], v[48:49], s[4:5], v[44:45]
	v_fma_f64 v[192:193], v[48:49], s[4:5], v[40:41]
	v_add_f64 v[40:41], v[194:195], v[232:233]
	v_add_f64 v[48:49], v[198:199], -v[194:195]
	v_fma_f64 v[40:41], v[40:41], -0.5, v[164:165]
	v_add_f64 v[48:49], v[48:49], v[50:51]
	v_add_f64 v[50:51], v[208:209], -v[206:207]
	v_fma_f64 v[44:45], v[46:47], s[16:17], v[40:41]
	v_fma_f64 v[40:41], v[46:47], s[14:15], v[40:41]
	v_add_f64 v[46:47], v[198:199], -v[224:225]
	v_fma_f64 v[44:45], v[42:43], s[6:7], v[44:45]
	v_fma_f64 v[40:41], v[42:43], s[18:19], v[40:41]
	v_add_f64 v[42:43], v[194:195], -v[232:233]
	v_fma_f64 v[200:201], v[48:49], s[4:5], v[44:45]
	v_fma_f64 v[164:165], v[48:49], s[4:5], v[40:41]
	v_add_f64 v[40:41], v[166:167], v[202:203]
	v_add_f64 v[48:49], v[202:203], -v[204:205]
	v_add_f64 v[40:41], v[40:41], v[204:205]
	v_add_f64 v[48:49], v[48:49], v[50:51]
	v_add_f64 v[50:51], v[206:207], -v[208:209]
	v_add_f64 v[40:41], v[40:41], v[206:207]
	v_add_f64 v[190:191], v[40:41], v[208:209]
	v_add_f64 v[40:41], v[204:205], v[206:207]
	v_fma_f64 v[40:41], v[40:41], -0.5, v[166:167]
	v_fma_f64 v[44:45], v[42:43], s[16:17], v[40:41]
	v_fma_f64 v[40:41], v[42:43], s[14:15], v[40:41]
	v_fma_f64 v[44:45], v[46:47], s[18:19], v[44:45]
	v_fma_f64 v[40:41], v[46:47], s[6:7], v[40:41]
	v_fma_f64 v[198:199], v[48:49], s[4:5], v[44:45]
	v_fma_f64 v[194:195], v[48:49], s[4:5], v[40:41]
	v_add_f64 v[40:41], v[202:203], v[208:209]
	v_add_f64 v[48:49], v[204:205], -v[202:203]
	v_fma_f64 v[40:41], v[40:41], -0.5, v[166:167]
	v_add_f64 v[48:49], v[48:49], v[50:51]
	v_add_f64 v[50:51], v[240:241], -v[238:239]
	v_fma_f64 v[44:45], v[46:47], s[14:15], v[40:41]
	v_fma_f64 v[40:41], v[46:47], s[16:17], v[40:41]
	v_add_f64 v[46:47], v[4:5], -v[234:235]
	v_fma_f64 v[44:45], v[42:43], s[18:19], v[44:45]
	v_fma_f64 v[40:41], v[42:43], s[6:7], v[40:41]
	v_add_f64 v[42:43], v[0:1], -v[236:237]
	v_fma_f64 v[202:203], v[48:49], s[4:5], v[44:45]
	v_fma_f64 v[166:167], v[48:49], s[4:5], v[40:41]
	v_add_f64 v[40:41], v[160:161], v[210:211]
	v_add_f64 v[48:49], v[210:211], -v[226:227]
	v_add_f64 v[40:41], v[40:41], v[226:227]
	v_add_f64 v[48:49], v[48:49], v[50:51]
	v_add_f64 v[50:51], v[238:239], -v[240:241]
	v_add_f64 v[40:41], v[40:41], v[238:239]
	v_add_f64 v[204:205], v[40:41], v[240:241]
	v_add_f64 v[40:41], v[226:227], v[238:239]
	v_fma_f64 v[40:41], v[40:41], -0.5, v[160:161]
	v_fma_f64 v[44:45], v[42:43], s[14:15], v[40:41]
	v_fma_f64 v[40:41], v[42:43], s[16:17], v[40:41]
	v_fma_f64 v[44:45], v[46:47], s[6:7], v[44:45]
	v_fma_f64 v[40:41], v[46:47], s[18:19], v[40:41]
	v_fma_f64 v[224:225], v[48:49], s[4:5], v[44:45]
	v_fma_f64 v[208:209], v[48:49], s[4:5], v[40:41]
	v_add_f64 v[40:41], v[210:211], v[240:241]
	v_add_f64 v[48:49], v[226:227], -v[210:211]
	v_fma_f64 v[40:41], v[40:41], -0.5, v[160:161]
	v_add_f64 v[48:49], v[48:49], v[50:51]
	v_add_f64 v[50:51], v[236:237], -v[234:235]
	v_fma_f64 v[44:45], v[46:47], s[16:17], v[40:41]
	v_fma_f64 v[40:41], v[46:47], s[14:15], v[40:41]
	v_add_f64 v[46:47], v[226:227], -v[238:239]
	v_fma_f64 v[44:45], v[42:43], s[6:7], v[44:45]
	v_fma_f64 v[40:41], v[42:43], s[18:19], v[40:41]
	v_add_f64 v[42:43], v[210:211], -v[240:241]
	v_fma_f64 v[232:233], v[48:49], s[4:5], v[44:45]
	v_fma_f64 v[160:161], v[48:49], s[4:5], v[40:41]
	v_add_f64 v[40:41], v[162:163], v[0:1]
	v_add_f64 v[48:49], v[0:1], -v[4:5]
	v_add_f64 v[40:41], v[40:41], v[4:5]
	v_add_f64 v[48:49], v[48:49], v[50:51]
	;; [unrolled: 1-line block ×5, first 2 shown]
	v_fma_f64 v[40:41], v[40:41], -0.5, v[162:163]
	v_fma_f64 v[44:45], v[42:43], s[16:17], v[40:41]
	v_fma_f64 v[40:41], v[42:43], s[14:15], v[40:41]
	;; [unrolled: 1-line block ×6, first 2 shown]
	v_add_f64 v[40:41], v[0:1], v[236:237]
	v_add_f64 v[0:1], v[4:5], -v[0:1]
	v_add_f64 v[4:5], v[234:235], -v[236:237]
	v_fma_f64 v[40:41], v[40:41], -0.5, v[162:163]
	v_add_f64 v[0:1], v[0:1], v[4:5]
	v_fma_f64 v[44:45], v[46:47], s[14:15], v[40:41]
	v_fma_f64 v[4:5], v[46:47], s[16:17], v[40:41]
	v_add_f64 v[40:41], v[2:3], -v[10:11]
	v_add_f64 v[46:47], v[26:27], -v[24:25]
	v_fma_f64 v[44:45], v[42:43], s[18:19], v[44:45]
	v_fma_f64 v[4:5], v[42:43], s[6:7], v[4:5]
	v_add_f64 v[42:43], v[6:7], -v[8:9]
	v_fma_f64 v[234:235], v[0:1], s[4:5], v[44:45]
	v_fma_f64 v[162:163], v[0:1], s[4:5], v[4:5]
	v_add_f64 v[0:1], v[152:153], v[20:21]
	v_add_f64 v[44:45], v[20:21], -v[22:23]
	v_add_f64 v[0:1], v[0:1], v[22:23]
	v_add_f64 v[44:45], v[44:45], v[46:47]
	v_add_f64 v[46:47], v[24:25], -v[26:27]
	v_add_f64 v[0:1], v[0:1], v[24:25]
	v_add_f64 v[236:237], v[0:1], v[26:27]
	;; [unrolled: 1-line block ×3, first 2 shown]
	v_fma_f64 v[0:1], v[0:1], -0.5, v[152:153]
	v_fma_f64 v[4:5], v[40:41], s[14:15], v[0:1]
	v_fma_f64 v[0:1], v[40:41], s[16:17], v[0:1]
	;; [unrolled: 1-line block ×6, first 2 shown]
	v_add_f64 v[0:1], v[20:21], v[26:27]
	v_add_f64 v[44:45], v[22:23], -v[20:21]
	v_add_f64 v[20:21], v[20:21], -v[26:27]
	;; [unrolled: 1-line block ×3, first 2 shown]
	v_fma_f64 v[0:1], v[0:1], -0.5, v[152:153]
	v_add_f64 v[44:45], v[44:45], v[46:47]
	v_fma_f64 v[4:5], v[42:43], s[16:17], v[0:1]
	v_fma_f64 v[0:1], v[42:43], s[14:15], v[0:1]
	v_add_f64 v[42:43], v[10:11], -v[8:9]
	v_fma_f64 v[4:5], v[40:41], s[6:7], v[4:5]
	v_fma_f64 v[0:1], v[40:41], s[18:19], v[0:1]
	v_add_f64 v[40:41], v[154:155], v[2:3]
	v_fma_f64 v[4:5], v[44:45], s[4:5], v[4:5]
	v_fma_f64 v[0:1], v[44:45], s[4:5], v[0:1]
	v_add_f64 v[40:41], v[40:41], v[6:7]
	v_add_f64 v[40:41], v[40:41], v[8:9]
	;; [unrolled: 1-line block ×4, first 2 shown]
	v_fma_f64 v[40:41], v[40:41], -0.5, v[154:155]
	v_fma_f64 v[26:27], v[20:21], s[16:17], v[40:41]
	v_fma_f64 v[24:25], v[22:23], s[18:19], v[26:27]
	v_add_f64 v[26:27], v[2:3], -v[6:7]
	v_add_f64 v[26:27], v[26:27], v[42:43]
	v_add_f64 v[42:43], v[32:33], -v[34:35]
	v_fma_f64 v[246:247], v[26:27], s[4:5], v[24:25]
	v_fma_f64 v[24:25], v[20:21], s[14:15], v[40:41]
	v_add_f64 v[40:41], v[34:35], -v[32:33]
	v_fma_f64 v[24:25], v[22:23], s[6:7], v[24:25]
	v_fma_f64 v[242:243], v[26:27], s[4:5], v[24:25]
	v_add_f64 v[24:25], v[2:3], v[10:11]
	v_add_f64 v[2:3], v[6:7], -v[2:3]
	v_add_f64 v[6:7], v[8:9], -v[10:11]
	v_add_f64 v[10:11], v[30:31], v[32:33]
	v_fma_f64 v[24:25], v[24:25], -0.5, v[154:155]
	v_add_f64 v[2:3], v[2:3], v[6:7]
	v_fma_f64 v[10:11], v[10:11], -0.5, v[156:157]
	v_fma_f64 v[26:27], v[22:23], s[14:15], v[24:25]
	v_fma_f64 v[8:9], v[22:23], s[16:17], v[24:25]
	v_add_f64 v[22:23], v[12:13], -v[18:19]
	v_add_f64 v[24:25], v[28:29], -v[30:31]
	v_fma_f64 v[26:27], v[20:21], s[18:19], v[26:27]
	v_fma_f64 v[8:9], v[20:21], s[6:7], v[8:9]
	;; [unrolled: 1-line block ×4, first 2 shown]
	v_add_f64 v[24:25], v[24:25], v[40:41]
	v_add_f64 v[40:41], v[30:31], -v[28:29]
	v_fma_f64 v[6:7], v[2:3], s[4:5], v[26:27]
	v_add_f64 v[26:27], v[14:15], -v[16:17]
	v_fma_f64 v[2:3], v[2:3], s[4:5], v[8:9]
	v_add_f64 v[8:9], v[156:157], v[28:29]
	v_add_f64 v[40:41], v[40:41], v[42:43]
	v_fma_f64 v[10:11], v[26:27], s[18:19], v[10:11]
	v_fma_f64 v[20:21], v[26:27], s[6:7], v[20:21]
	v_add_f64 v[8:9], v[8:9], v[30:31]
	v_add_f64 v[30:31], v[30:31], -v[32:33]
	v_fma_f64 v[152:153], v[24:25], s[4:5], v[10:11]
	v_add_f64 v[10:11], v[28:29], v[34:35]
	v_fma_f64 v[20:21], v[24:25], s[4:5], v[20:21]
	v_add_f64 v[8:9], v[8:9], v[32:33]
	v_add_f64 v[28:29], v[28:29], -v[34:35]
	v_add_f64 v[32:33], v[12:13], -v[14:15]
	v_fma_f64 v[10:11], v[10:11], -0.5, v[156:157]
	v_add_f64 v[8:9], v[8:9], v[34:35]
	v_add_f64 v[34:35], v[18:19], -v[16:17]
	v_fma_f64 v[24:25], v[26:27], s[16:17], v[10:11]
	v_fma_f64 v[10:11], v[26:27], s[14:15], v[10:11]
	v_add_f64 v[32:33], v[32:33], v[34:35]
	v_fma_f64 v[24:25], v[22:23], s[6:7], v[24:25]
	v_fma_f64 v[10:11], v[22:23], s[18:19], v[10:11]
	v_add_f64 v[22:23], v[14:15], v[16:17]
	v_fma_f64 v[24:25], v[40:41], s[4:5], v[24:25]
	v_fma_f64 v[156:157], v[40:41], s[4:5], v[10:11]
	v_fma_f64 v[26:27], v[22:23], -0.5, v[158:159]
	v_add_f64 v[10:11], v[158:159], v[12:13]
	v_fma_f64 v[22:23], v[28:29], s[16:17], v[26:27]
	v_fma_f64 v[26:27], v[28:29], s[14:15], v[26:27]
	v_add_f64 v[10:11], v[10:11], v[14:15]
	v_fma_f64 v[22:23], v[30:31], s[18:19], v[22:23]
	v_fma_f64 v[26:27], v[30:31], s[6:7], v[26:27]
	v_add_f64 v[10:11], v[10:11], v[16:17]
	v_fma_f64 v[22:23], v[32:33], s[4:5], v[22:23]
	v_fma_f64 v[154:155], v[32:33], s[4:5], v[26:27]
	v_add_f64 v[26:27], v[12:13], v[18:19]
	v_add_f64 v[12:13], v[14:15], -v[12:13]
	v_add_f64 v[14:15], v[16:17], -v[18:19]
	v_add_f64 v[10:11], v[10:11], v[18:19]
	v_fma_f64 v[32:33], v[26:27], -0.5, v[158:159]
	v_add_f64 v[12:13], v[12:13], v[14:15]
	v_fma_f64 v[26:27], v[30:31], s[14:15], v[32:33]
	v_fma_f64 v[14:15], v[30:31], s[16:17], v[32:33]
	;; [unrolled: 1-line block ×4, first 2 shown]
	s_movk_i32 s6, 0x6000
	v_fma_f64 v[26:27], v[12:13], s[4:5], v[26:27]
	v_fma_f64 v[158:159], v[12:13], s[4:5], v[14:15]
	ds_write_b128 v212, v[168:171]
	ds_write_b128 v212, v[176:179] offset:5040
	ds_write_b128 v212, v[184:187] offset:10080
	;; [unrolled: 1-line block ×24, first 2 shown]
	s_waitcnt lgkmcnt(0)
	; wave barrier
	s_waitcnt lgkmcnt(0)
	buffer_load_dword v18, off, s[40:43], 0 ; 4-byte Folded Reload
	s_movk_i32 s4, 0x6270
	ds_read_b128 v[2:5], v212
	s_waitcnt vmcnt(0)
	v_add_co_u32_e32 v0, vcc, s4, v18
	v_addc_co_u32_e32 v1, vcc, 0, v213, vcc
	v_add_co_u32_e32 v6, vcc, s6, v18
	v_addc_co_u32_e32 v7, vcc, 0, v213, vcc
	global_load_dwordx4 v[6:9], v[6:7], off offset:624
	s_mov_b32 s4, 0x8000
	v_add_co_u32_e32 v14, vcc, s4, v18
	v_addc_co_u32_e32 v15, vcc, 0, v213, vcc
	s_mov_b32 s4, 0xa000
	v_add_co_u32_e32 v16, vcc, s4, v18
	v_addc_co_u32_e32 v17, vcc, 0, v213, vcc
	s_mov_b32 s4, 0x9000
	s_waitcnt vmcnt(0) lgkmcnt(0)
	v_mul_f64 v[10:11], v[4:5], v[8:9]
	v_fma_f64 v[10:11], v[2:3], v[6:7], -v[10:11]
	v_mul_f64 v[2:3], v[2:3], v[8:9]
	v_fma_f64 v[12:13], v[4:5], v[6:7], v[2:3]
	global_load_dwordx4 v[6:9], v[14:15], off offset:832
	ds_read_b128 v[2:5], v212 offset:8400
	ds_write_b128 v212, v[10:13]
	s_waitcnt vmcnt(0) lgkmcnt(1)
	v_mul_f64 v[10:11], v[4:5], v[8:9]
	v_fma_f64 v[10:11], v[2:3], v[6:7], -v[10:11]
	v_mul_f64 v[2:3], v[2:3], v[8:9]
	v_fma_f64 v[12:13], v[4:5], v[6:7], v[2:3]
	global_load_dwordx4 v[6:9], v[16:17], off offset:1040
	ds_read_b128 v[2:5], v212 offset:16800
	ds_write_b128 v212, v[10:13] offset:8400
	s_waitcnt vmcnt(0) lgkmcnt(1)
	v_mul_f64 v[10:11], v[4:5], v[8:9]
	v_fma_f64 v[10:11], v[2:3], v[6:7], -v[10:11]
	v_mul_f64 v[2:3], v[2:3], v[8:9]
	v_fma_f64 v[12:13], v[4:5], v[6:7], v[2:3]
	global_load_dwordx4 v[6:9], v[0:1], off offset:1008
	ds_read_b128 v[2:5], v212 offset:1008
	ds_write_b128 v212, v[10:13] offset:16800
	;; [unrolled: 8-line block ×8, first 2 shown]
	s_waitcnt vmcnt(0) lgkmcnt(1)
	v_mul_f64 v[10:11], v[4:5], v[8:9]
	v_fma_f64 v[10:11], v[2:3], v[6:7], -v[10:11]
	v_mul_f64 v[2:3], v[2:3], v[8:9]
	v_fma_f64 v[12:13], v[4:5], v[6:7], v[2:3]
	global_load_dwordx4 v[6:9], v[14:15], off offset:3856
	ds_read_b128 v[2:5], v212 offset:11424
	v_add_co_u32_e32 v14, vcc, s4, v18
	v_addc_co_u32_e32 v15, vcc, 0, v213, vcc
	s_mov_b32 s4, 0xb000
	ds_write_b128 v212, v[10:13] offset:3024
	s_waitcnt vmcnt(0) lgkmcnt(1)
	v_mul_f64 v[10:11], v[4:5], v[8:9]
	v_fma_f64 v[10:11], v[2:3], v[6:7], -v[10:11]
	v_mul_f64 v[2:3], v[2:3], v[8:9]
	v_fma_f64 v[12:13], v[4:5], v[6:7], v[2:3]
	global_load_dwordx4 v[6:9], v[16:17], off offset:4064
	ds_read_b128 v[2:5], v212 offset:19824
	v_add_co_u32_e32 v16, vcc, s4, v18
	v_addc_co_u32_e32 v17, vcc, 0, v213, vcc
	s_movk_i32 s4, 0x7000
	ds_write_b128 v212, v[10:13] offset:11424
	v_add_co_u32_e32 v18, vcc, s4, v18
	v_addc_co_u32_e32 v19, vcc, 0, v213, vcc
	s_waitcnt vmcnt(0) lgkmcnt(1)
	v_mul_f64 v[10:11], v[4:5], v[8:9]
	v_fma_f64 v[10:11], v[2:3], v[6:7], -v[10:11]
	v_mul_f64 v[2:3], v[2:3], v[8:9]
	v_fma_f64 v[12:13], v[4:5], v[6:7], v[2:3]
	global_load_dwordx4 v[6:9], v[0:1], off offset:4032
	ds_read_b128 v[2:5], v212 offset:4032
	ds_write_b128 v212, v[10:13] offset:19824
	s_waitcnt vmcnt(0) lgkmcnt(1)
	v_mul_f64 v[10:11], v[4:5], v[8:9]
	v_fma_f64 v[10:11], v[2:3], v[6:7], -v[10:11]
	v_mul_f64 v[2:3], v[2:3], v[8:9]
	v_fma_f64 v[12:13], v[4:5], v[6:7], v[2:3]
	global_load_dwordx4 v[6:9], v[14:15], off offset:768
	ds_read_b128 v[2:5], v212 offset:12432
	ds_write_b128 v212, v[10:13] offset:4032
	;; [unrolled: 8-line block ×12, first 2 shown]
	s_waitcnt vmcnt(0) lgkmcnt(1)
	v_mul_f64 v[10:11], v[4:5], v[8:9]
	v_fma_f64 v[10:11], v[2:3], v[6:7], -v[10:11]
	v_mul_f64 v[2:3], v[2:3], v[8:9]
	v_fma_f64 v[12:13], v[4:5], v[6:7], v[2:3]
	ds_write_b128 v212, v[10:13] offset:23856
	s_and_saveexec_b64 s[4:5], s[0:1]
	s_cbranch_execz .LBB0_17
; %bb.16:
	v_add_co_u32_e32 v6, vcc, 0x1000, v0
	v_addc_co_u32_e32 v7, vcc, 0, v1, vcc
	global_load_dwordx4 v[6:9], v[6:7], off offset:3968
	ds_read_b128 v[2:5], v212 offset:8064
	s_movk_i32 s7, 0x4000
	s_waitcnt vmcnt(0) lgkmcnt(0)
	v_mul_f64 v[10:11], v[4:5], v[8:9]
	v_fma_f64 v[10:11], v[2:3], v[6:7], -v[10:11]
	v_mul_f64 v[2:3], v[2:3], v[8:9]
	v_fma_f64 v[12:13], v[4:5], v[6:7], v[2:3]
	v_add_co_u32_e32 v6, vcc, s7, v0
	v_addc_co_u32_e32 v7, vcc, 0, v1, vcc
	global_load_dwordx4 v[6:9], v[6:7], off offset:80
	ds_read_b128 v[2:5], v212 offset:16464
	v_add_co_u32_e32 v0, vcc, s6, v0
	ds_write_b128 v212, v[10:13] offset:8064
	v_addc_co_u32_e32 v1, vcc, 0, v1, vcc
	s_waitcnt vmcnt(0) lgkmcnt(1)
	v_mul_f64 v[10:11], v[4:5], v[8:9]
	v_fma_f64 v[10:11], v[2:3], v[6:7], -v[10:11]
	v_mul_f64 v[2:3], v[2:3], v[8:9]
	v_fma_f64 v[12:13], v[4:5], v[6:7], v[2:3]
	global_load_dwordx4 v[6:9], v[0:1], off offset:288
	ds_read_b128 v[2:5], v212 offset:24864
	ds_write_b128 v212, v[10:13] offset:16464
	s_waitcnt vmcnt(0) lgkmcnt(1)
	v_mul_f64 v[0:1], v[4:5], v[8:9]
	v_fma_f64 v[0:1], v[2:3], v[6:7], -v[0:1]
	v_mul_f64 v[2:3], v[2:3], v[8:9]
	v_fma_f64 v[2:3], v[4:5], v[6:7], v[2:3]
	ds_write_b128 v212, v[0:3] offset:24864
.LBB0_17:
	s_or_b64 exec, exec, s[4:5]
	s_waitcnt lgkmcnt(0)
	; wave barrier
	s_waitcnt lgkmcnt(0)
	ds_read_b128 v[196:199], v212
	ds_read_b128 v[232:235], v212 offset:1008
	ds_read_b128 v[236:239], v212 offset:8400
	;; [unrolled: 1-line block ×23, first 2 shown]
	s_and_saveexec_b64 s[4:5], s[0:1]
	s_cbranch_execz .LBB0_19
; %bb.18:
	ds_read_b128 v[152:155], v212 offset:8064
	ds_read_b128 v[144:147], v212 offset:16464
	;; [unrolled: 1-line block ×3, first 2 shown]
.LBB0_19:
	s_or_b64 exec, exec, s[4:5]
	s_waitcnt lgkmcnt(14)
	v_add_f64 v[16:17], v[196:197], v[236:237]
	v_add_f64 v[34:35], v[238:239], -v[32:33]
	s_mov_b32 s4, 0xe8584caa
	s_mov_b32 s5, 0xbfebb67a
	;; [unrolled: 1-line block ×4, first 2 shown]
	s_waitcnt lgkmcnt(6)
	v_add_f64 v[40:41], v[190:191], -v[194:195]
	v_add_f64 v[42:43], v[188:189], -v[192:193]
	v_add_f64 v[160:161], v[16:17], v[30:31]
	v_add_f64 v[16:17], v[236:237], v[30:31]
	v_add_f64 v[30:31], v[236:237], -v[30:31]
	s_waitcnt lgkmcnt(0)
	v_add_f64 v[44:45], v[164:165], -v[168:169]
	v_add_f64 v[46:47], v[146:147], -v[150:151]
	s_waitcnt lgkmcnt(0)
	; wave barrier
	v_fma_f64 v[16:17], v[16:17], -0.5, v[196:197]
	v_fma_f64 v[200:201], v[34:35], s[4:5], v[16:17]
	v_fma_f64 v[196:197], v[34:35], s[6:7], v[16:17]
	v_add_f64 v[16:17], v[198:199], v[238:239]
	v_add_f64 v[34:35], v[188:189], v[192:193]
	;; [unrolled: 1-line block ×4, first 2 shown]
	v_add_f64 v[32:33], v[208:209], -v[224:225]
	v_fma_f64 v[34:35], v[34:35], -0.5, v[184:185]
	v_fma_f64 v[16:17], v[16:17], -0.5, v[198:199]
	v_fma_f64 v[202:203], v[30:31], s[6:7], v[16:17]
	v_fma_f64 v[198:199], v[30:31], s[4:5], v[16:17]
	v_add_f64 v[16:17], v[232:233], v[242:243]
	v_add_f64 v[30:31], v[244:245], -v[28:29]
	v_add_f64 v[236:237], v[16:17], v[26:27]
	v_add_f64 v[16:17], v[242:243], v[26:27]
	v_add_f64 v[26:27], v[242:243], -v[26:27]
	v_fma_f64 v[16:17], v[16:17], -0.5, v[232:233]
	v_fma_f64 v[240:241], v[30:31], s[4:5], v[16:17]
	v_fma_f64 v[232:233], v[30:31], s[6:7], v[16:17]
	v_add_f64 v[16:17], v[234:235], v[244:245]
	v_add_f64 v[238:239], v[16:17], v[28:29]
	;; [unrolled: 1-line block ×3, first 2 shown]
	v_fma_f64 v[16:17], v[16:17], -0.5, v[234:235]
	v_fma_f64 v[242:243], v[26:27], s[6:7], v[16:17]
	v_fma_f64 v[234:235], v[26:27], s[4:5], v[16:17]
	v_add_f64 v[16:17], v[0:1], v[18:19]
	v_add_f64 v[26:27], v[20:21], -v[24:25]
	v_add_f64 v[244:245], v[16:17], v[22:23]
	v_add_f64 v[16:17], v[18:19], v[22:23]
	v_fma_f64 v[0:1], v[16:17], -0.5, v[0:1]
	v_fma_f64 v[16:17], v[26:27], s[4:5], v[0:1]
	v_fma_f64 v[0:1], v[26:27], s[6:7], v[0:1]
	v_add_f64 v[26:27], v[2:3], v[20:21]
	v_add_f64 v[20:21], v[20:21], v[24:25]
	;; [unrolled: 1-line block ×3, first 2 shown]
	v_fma_f64 v[2:3], v[20:21], -0.5, v[2:3]
	v_add_f64 v[20:21], v[18:19], -v[22:23]
	v_add_f64 v[22:23], v[8:9], v[12:13]
	v_add_f64 v[24:25], v[10:11], -v[14:15]
	v_fma_f64 v[18:19], v[20:21], s[6:7], v[2:3]
	v_fma_f64 v[22:23], v[22:23], -0.5, v[4:5]
	v_fma_f64 v[2:3], v[20:21], s[4:5], v[2:3]
	v_add_f64 v[20:21], v[4:5], v[8:9]
	v_add_f64 v[8:9], v[8:9], -v[12:13]
	v_fma_f64 v[4:5], v[24:25], s[4:5], v[22:23]
	v_fma_f64 v[24:25], v[24:25], s[6:7], v[22:23]
	v_add_f64 v[22:23], v[6:7], v[10:11]
	v_add_f64 v[10:11], v[10:11], v[14:15]
	;; [unrolled: 1-line block ×4, first 2 shown]
	v_fma_f64 v[10:11], v[10:11], -0.5, v[6:7]
	v_add_f64 v[14:15], v[210:211], -v[226:227]
	v_fma_f64 v[6:7], v[8:9], s[6:7], v[10:11]
	v_fma_f64 v[26:27], v[8:9], s[4:5], v[10:11]
	v_add_f64 v[10:11], v[208:209], v[224:225]
	v_add_f64 v[8:9], v[204:205], v[208:209]
	v_fma_f64 v[10:11], v[10:11], -0.5, v[204:205]
	v_fma_f64 v[204:205], v[40:41], s[6:7], v[34:35]
	v_add_f64 v[8:9], v[8:9], v[224:225]
	v_fma_f64 v[12:13], v[14:15], s[4:5], v[10:11]
	v_fma_f64 v[28:29], v[14:15], s[6:7], v[10:11]
	v_add_f64 v[14:15], v[210:211], v[226:227]
	v_add_f64 v[10:11], v[206:207], v[210:211]
	v_fma_f64 v[30:31], v[14:15], -0.5, v[206:207]
	v_add_f64 v[10:11], v[10:11], v[226:227]
	v_fma_f64 v[14:15], v[32:33], s[6:7], v[30:31]
	v_fma_f64 v[30:31], v[32:33], s[4:5], v[30:31]
	v_add_f64 v[32:33], v[184:185], v[188:189]
	v_fma_f64 v[184:185], v[40:41], s[4:5], v[34:35]
	v_add_f64 v[40:41], v[190:191], v[194:195]
	v_add_f64 v[34:35], v[186:187], v[190:191]
	;; [unrolled: 1-line block ×3, first 2 shown]
	v_fma_f64 v[40:41], v[40:41], -0.5, v[186:187]
	v_add_f64 v[34:35], v[34:35], v[194:195]
	v_fma_f64 v[186:187], v[42:43], s[6:7], v[40:41]
	v_fma_f64 v[206:207], v[42:43], s[4:5], v[40:41]
	v_add_f64 v[40:41], v[172:173], v[176:177]
	v_add_f64 v[42:43], v[178:179], -v[182:183]
	v_add_f64 v[188:189], v[40:41], v[180:181]
	v_add_f64 v[40:41], v[176:177], v[180:181]
	v_fma_f64 v[40:41], v[40:41], -0.5, v[172:173]
	v_fma_f64 v[192:193], v[42:43], s[4:5], v[40:41]
	v_fma_f64 v[208:209], v[42:43], s[6:7], v[40:41]
	v_add_f64 v[40:41], v[174:175], v[178:179]
	v_add_f64 v[42:43], v[176:177], -v[180:181]
	v_add_f64 v[190:191], v[40:41], v[182:183]
	v_add_f64 v[40:41], v[178:179], v[182:183]
	v_fma_f64 v[40:41], v[40:41], -0.5, v[174:175]
	;; [unrolled: 7-line block ×3, first 2 shown]
	v_fma_f64 v[224:225], v[42:43], s[4:5], v[40:41]
	v_fma_f64 v[40:41], v[42:43], s[6:7], v[40:41]
	v_add_f64 v[42:43], v[158:159], v[166:167]
	v_add_f64 v[182:183], v[42:43], v[170:171]
	;; [unrolled: 1-line block ×3, first 2 shown]
	v_fma_f64 v[42:43], v[42:43], -0.5, v[158:159]
	v_fma_f64 v[226:227], v[44:45], s[6:7], v[42:43]
	v_fma_f64 v[42:43], v[44:45], s[4:5], v[42:43]
	v_add_f64 v[44:45], v[152:153], v[144:145]
	v_add_f64 v[156:157], v[44:45], v[148:149]
	;; [unrolled: 1-line block ×3, first 2 shown]
	v_fma_f64 v[44:45], v[44:45], -0.5, v[152:153]
	v_fma_f64 v[172:173], v[46:47], s[4:5], v[44:45]
	v_fma_f64 v[176:177], v[46:47], s[6:7], v[44:45]
	v_add_f64 v[44:45], v[154:155], v[146:147]
	v_add_f64 v[46:47], v[144:145], -v[148:149]
	v_add_f64 v[158:159], v[44:45], v[150:151]
	v_add_f64 v[44:45], v[146:147], v[150:151]
	v_fma_f64 v[44:45], v[44:45], -0.5, v[154:155]
	v_fma_f64 v[174:175], v[46:47], s[6:7], v[44:45]
	v_fma_f64 v[178:179], v[46:47], s[4:5], v[44:45]
	buffer_load_dword v44, off, s[40:43], 0 offset:420 ; 4-byte Folded Reload
	s_waitcnt vmcnt(0)
	ds_write_b128 v44, v[160:163]
	ds_write_b128 v44, v[200:203] offset:16
	ds_write_b128 v44, v[196:199] offset:32
	buffer_load_dword v44, off, s[40:43], 0 offset:424 ; 4-byte Folded Reload
	s_waitcnt vmcnt(0)
	ds_write_b128 v44, v[236:239]
	ds_write_b128 v44, v[240:243] offset:16
	ds_write_b128 v44, v[232:235] offset:32
	;; [unrolled: 5-line block ×8, first 2 shown]
	s_and_saveexec_b64 s[4:5], s[0:1]
	s_cbranch_execz .LBB0_21
; %bb.20:
	buffer_load_dword v0, off, s[40:43], 0 offset:1328 ; 4-byte Folded Reload
	s_waitcnt vmcnt(0)
	v_lshlrev_b32_e32 v0, 4, v0
	ds_write_b128 v0, v[156:159]
	ds_write_b128 v0, v[172:175] offset:16
	ds_write_b128 v0, v[176:179] offset:32
.LBB0_21:
	s_or_b64 exec, exec, s[4:5]
	s_waitcnt lgkmcnt(0)
	; wave barrier
	s_waitcnt lgkmcnt(0)
	ds_read_b128 v[184:187], v212
	ds_read_b128 v[180:183], v212 offset:1008
	ds_read_b128 v[224:227], v212 offset:8400
	;; [unrolled: 1-line block ×23, first 2 shown]
	s_and_saveexec_b64 s[4:5], s[0:1]
	s_cbranch_execz .LBB0_23
; %bb.22:
	ds_read_b128 v[156:159], v212 offset:8064
	ds_read_b128 v[172:175], v212 offset:16464
	ds_read_b128 v[176:179], v212 offset:24864
.LBB0_23:
	s_or_b64 exec, exec, s[4:5]
	buffer_load_dword v44, off, s[40:43], 0 offset:468 ; 4-byte Folded Reload
	buffer_load_dword v45, off, s[40:43], 0 offset:472 ; 4-byte Folded Reload
	;; [unrolled: 1-line block ×20, first 2 shown]
	s_mov_b32 s4, 0xe8584caa
	s_mov_b32 s5, 0xbfebb67a
	;; [unrolled: 1-line block ×3, first 2 shown]
	s_waitcnt vmcnt(16) lgkmcnt(14)
	v_mul_f64 v[40:41], v[46:47], v[226:227]
	v_mul_f64 v[42:43], v[46:47], v[224:225]
	s_waitcnt vmcnt(12)
	v_mul_f64 v[46:47], v[50:51], v[208:209]
	v_fma_f64 v[40:41], v[44:45], v[224:225], v[40:41]
	v_fma_f64 v[42:43], v[44:45], v[226:227], -v[42:43]
	v_mul_f64 v[44:45], v[50:51], v[210:211]
	v_fma_f64 v[46:47], v[48:49], v[210:211], -v[46:47]
	s_waitcnt vmcnt(8)
	v_mul_f64 v[50:51], v[54:55], v[204:205]
	v_fma_f64 v[44:45], v[48:49], v[208:209], v[44:45]
	v_mul_f64 v[48:49], v[54:55], v[206:207]
	v_fma_f64 v[50:51], v[52:53], v[206:207], -v[50:51]
	s_waitcnt vmcnt(4)
	v_mul_f64 v[54:55], v[58:59], v[200:201]
	v_fma_f64 v[48:49], v[52:53], v[204:205], v[48:49]
	;; [unrolled: 5-line block ×3, first 2 shown]
	v_mul_f64 v[56:57], v[62:63], v[198:199]
	v_fma_f64 v[58:59], v[60:61], v[198:199], -v[58:59]
	v_fma_f64 v[56:57], v[60:61], v[196:197], v[56:57]
	buffer_load_dword v60, off, s[40:43], 0 offset:516 ; 4-byte Folded Reload
	buffer_load_dword v61, off, s[40:43], 0 offset:520 ; 4-byte Folded Reload
	;; [unrolled: 1-line block ×4, first 2 shown]
	s_waitcnt vmcnt(0) lgkmcnt(13)
	v_mul_f64 v[196:197], v[62:63], v[34:35]
	v_fma_f64 v[200:201], v[60:61], v[32:33], v[196:197]
	v_mul_f64 v[32:33], v[62:63], v[32:33]
	v_fma_f64 v[34:35], v[60:61], v[34:35], -v[32:33]
	buffer_load_dword v60, off, s[40:43], 0 offset:564 ; 4-byte Folded Reload
	buffer_load_dword v61, off, s[40:43], 0 offset:568 ; 4-byte Folded Reload
	;; [unrolled: 1-line block ×4, first 2 shown]
	s_waitcnt vmcnt(0)
	v_mul_f64 v[32:33], v[62:63], v[194:195]
	v_fma_f64 v[202:203], v[60:61], v[192:193], v[32:33]
	v_mul_f64 v[32:33], v[62:63], v[192:193]
	v_fma_f64 v[204:205], v[60:61], v[194:195], -v[32:33]
	buffer_load_dword v60, off, s[40:43], 0 offset:548 ; 4-byte Folded Reload
	buffer_load_dword v61, off, s[40:43], 0 offset:552 ; 4-byte Folded Reload
	buffer_load_dword v62, off, s[40:43], 0 offset:556 ; 4-byte Folded Reload
	buffer_load_dword v63, off, s[40:43], 0 offset:560 ; 4-byte Folded Reload
	s_waitcnt vmcnt(0) lgkmcnt(12)
	v_mul_f64 v[32:33], v[62:63], v[190:191]
	v_fma_f64 v[206:207], v[60:61], v[188:189], v[32:33]
	v_mul_f64 v[32:33], v[62:63], v[188:189]
	v_fma_f64 v[208:209], v[60:61], v[190:191], -v[32:33]
	buffer_load_dword v60, off, s[40:43], 0 offset:596 ; 4-byte Folded Reload
	buffer_load_dword v61, off, s[40:43], 0 offset:600 ; 4-byte Folded Reload
	buffer_load_dword v62, off, s[40:43], 0 offset:604 ; 4-byte Folded Reload
	buffer_load_dword v63, off, s[40:43], 0 offset:608 ; 4-byte Folded Reload
	s_waitcnt vmcnt(0) lgkmcnt(9)
	;; [unrolled: 9-line block ×3, first 2 shown]
	v_mul_f64 v[28:29], v[32:33], v[26:27]
	v_fma_f64 v[224:225], v[30:31], v[24:25], v[28:29]
	v_mul_f64 v[24:25], v[32:33], v[24:25]
	v_fma_f64 v[226:227], v[30:31], v[26:27], -v[24:25]
	buffer_load_dword v30, off, s[40:43], 0 offset:628 ; 4-byte Folded Reload
	buffer_load_dword v31, off, s[40:43], 0 offset:632 ; 4-byte Folded Reload
	;; [unrolled: 1-line block ×4, first 2 shown]
	s_waitcnt vmcnt(0)
	v_mul_f64 v[24:25], v[32:33], v[22:23]
	v_fma_f64 v[28:29], v[30:31], v[20:21], v[24:25]
	v_mul_f64 v[20:21], v[32:33], v[20:21]
	v_fma_f64 v[30:31], v[30:31], v[22:23], -v[20:21]
	buffer_load_dword v22, off, s[40:43], 0 offset:612 ; 4-byte Folded Reload
	buffer_load_dword v23, off, s[40:43], 0 offset:616 ; 4-byte Folded Reload
	buffer_load_dword v24, off, s[40:43], 0 offset:620 ; 4-byte Folded Reload
	buffer_load_dword v25, off, s[40:43], 0 offset:624 ; 4-byte Folded Reload
	s_waitcnt vmcnt(0) lgkmcnt(6)
	v_mul_f64 v[20:21], v[24:25], v[18:19]
	v_fma_f64 v[32:33], v[22:23], v[16:17], v[20:21]
	v_mul_f64 v[16:17], v[24:25], v[16:17]
	v_fma_f64 v[234:235], v[22:23], v[18:19], -v[16:17]
	buffer_load_dword v22, off, s[40:43], 0 offset:660 ; 4-byte Folded Reload
	buffer_load_dword v23, off, s[40:43], 0 offset:664 ; 4-byte Folded Reload
	buffer_load_dword v24, off, s[40:43], 0 offset:668 ; 4-byte Folded Reload
	buffer_load_dword v25, off, s[40:43], 0 offset:672 ; 4-byte Folded Reload
	s_waitcnt vmcnt(0) lgkmcnt(3)
	;; [unrolled: 9-line block ×3, first 2 shown]
	v_mul_f64 v[12:13], v[16:17], v[10:11]
	v_fma_f64 v[22:23], v[14:15], v[8:9], v[12:13]
	v_mul_f64 v[8:9], v[16:17], v[8:9]
	v_fma_f64 v[26:27], v[14:15], v[10:11], -v[8:9]
	buffer_load_dword v14, off, s[40:43], 0 offset:692 ; 4-byte Folded Reload
	buffer_load_dword v15, off, s[40:43], 0 offset:696 ; 4-byte Folded Reload
	;; [unrolled: 1-line block ×4, first 2 shown]
	s_waitcnt vmcnt(0)
	v_mul_f64 v[8:9], v[16:17], v[6:7]
	v_fma_f64 v[12:13], v[14:15], v[4:5], v[8:9]
	v_mul_f64 v[4:5], v[16:17], v[4:5]
	v_fma_f64 v[14:15], v[14:15], v[6:7], -v[4:5]
	buffer_load_dword v6, off, s[40:43], 0 offset:676 ; 4-byte Folded Reload
	buffer_load_dword v7, off, s[40:43], 0 offset:680 ; 4-byte Folded Reload
	;; [unrolled: 1-line block ×4, first 2 shown]
	s_waitcnt vmcnt(0) lgkmcnt(0)
	v_mul_f64 v[4:5], v[8:9], v[2:3]
	v_fma_f64 v[16:17], v[6:7], v[0:1], v[4:5]
	v_mul_f64 v[0:1], v[8:9], v[0:1]
	v_fma_f64 v[18:19], v[6:7], v[2:3], -v[0:1]
	buffer_load_dword v6, off, s[40:43], 0 offset:724 ; 4-byte Folded Reload
	buffer_load_dword v7, off, s[40:43], 0 offset:728 ; 4-byte Folded Reload
	;; [unrolled: 1-line block ×8, first 2 shown]
	v_add_f64 v[2:3], v[42:43], -v[46:47]
	s_waitcnt lgkmcnt(0)
	; wave barrier
	s_waitcnt vmcnt(4)
	v_mul_f64 v[0:1], v[8:9], v[174:175]
	v_fma_f64 v[4:5], v[6:7], v[172:173], v[0:1]
	v_mul_f64 v[0:1], v[8:9], v[172:173]
	v_fma_f64 v[10:11], v[6:7], v[174:175], -v[0:1]
	s_waitcnt vmcnt(0)
	v_mul_f64 v[0:1], v[62:63], v[178:179]
	v_fma_f64 v[6:7], v[60:61], v[176:177], v[0:1]
	v_mul_f64 v[0:1], v[62:63], v[176:177]
	v_fma_f64 v[8:9], v[60:61], v[178:179], -v[0:1]
	v_add_f64 v[0:1], v[184:185], v[40:41]
	v_add_f64 v[172:173], v[0:1], v[44:45]
	;; [unrolled: 1-line block ×3, first 2 shown]
	v_fma_f64 v[0:1], v[0:1], -0.5, v[184:185]
	v_fma_f64 v[184:185], v[2:3], s[4:5], v[0:1]
	v_fma_f64 v[176:177], v[2:3], s[6:7], v[0:1]
	v_add_f64 v[0:1], v[186:187], v[42:43]
	v_add_f64 v[2:3], v[40:41], -v[44:45]
	v_add_f64 v[44:45], v[204:205], -v[208:209]
	v_add_f64 v[174:175], v[0:1], v[46:47]
	v_add_f64 v[0:1], v[42:43], v[46:47]
	v_fma_f64 v[0:1], v[0:1], -0.5, v[186:187]
	v_fma_f64 v[186:187], v[2:3], s[6:7], v[0:1]
	v_fma_f64 v[178:179], v[2:3], s[4:5], v[0:1]
	v_add_f64 v[0:1], v[180:181], v[48:49]
	v_add_f64 v[2:3], v[50:51], -v[54:55]
	v_add_f64 v[188:189], v[0:1], v[52:53]
	v_add_f64 v[0:1], v[48:49], v[52:53]
	v_fma_f64 v[0:1], v[0:1], -0.5, v[180:181]
	v_fma_f64 v[192:193], v[2:3], s[4:5], v[0:1]
	v_fma_f64 v[180:181], v[2:3], s[6:7], v[0:1]
	v_add_f64 v[0:1], v[182:183], v[50:51]
	;; [unrolled: 7-line block ×4, first 2 shown]
	v_add_f64 v[198:199], v[2:3], v[34:35]
	v_add_f64 v[2:3], v[58:59], v[34:35]
	v_add_f64 v[34:35], v[56:57], -v[200:201]
	v_fma_f64 v[2:3], v[2:3], -0.5, v[170:171]
	v_fma_f64 v[42:43], v[34:35], s[6:7], v[2:3]
	v_fma_f64 v[2:3], v[34:35], s[4:5], v[2:3]
	v_add_f64 v[34:35], v[164:165], v[202:203]
	v_add_f64 v[168:169], v[34:35], v[206:207]
	;; [unrolled: 1-line block ×3, first 2 shown]
	v_fma_f64 v[34:35], v[34:35], -0.5, v[164:165]
	v_fma_f64 v[164:165], v[44:45], s[4:5], v[34:35]
	v_fma_f64 v[200:201], v[44:45], s[6:7], v[34:35]
	v_add_f64 v[34:35], v[166:167], v[204:205]
	v_add_f64 v[44:45], v[202:203], -v[206:207]
	v_add_f64 v[170:171], v[34:35], v[208:209]
	v_add_f64 v[34:35], v[204:205], v[208:209]
	v_fma_f64 v[34:35], v[34:35], -0.5, v[166:167]
	v_fma_f64 v[166:167], v[44:45], s[6:7], v[34:35]
	v_fma_f64 v[202:203], v[44:45], s[4:5], v[34:35]
	v_add_f64 v[34:35], v[160:161], v[210:211]
	v_add_f64 v[44:45], v[213:214], -v[226:227]
	v_add_f64 v[204:205], v[34:35], v[224:225]
	v_add_f64 v[34:35], v[210:211], v[224:225]
	;; [unrolled: 7-line block ×4, first 2 shown]
	v_add_f64 v[28:29], v[28:29], -v[32:33]
	v_fma_f64 v[34:35], v[34:35], -0.5, v[152:153]
	v_fma_f64 v[152:153], v[44:45], s[4:5], v[34:35]
	v_fma_f64 v[232:233], v[44:45], s[6:7], v[34:35]
	v_add_f64 v[34:35], v[154:155], v[30:31]
	v_add_f64 v[30:31], v[30:31], v[234:235]
	;; [unrolled: 1-line block ×3, first 2 shown]
	v_fma_f64 v[30:31], v[30:31], -0.5, v[154:155]
	v_add_f64 v[34:35], v[24:25], -v[26:27]
	v_fma_f64 v[154:155], v[28:29], s[6:7], v[30:31]
	v_fma_f64 v[234:235], v[28:29], s[4:5], v[30:31]
	v_add_f64 v[30:31], v[20:21], v[22:23]
	v_add_f64 v[28:29], v[148:149], v[20:21]
	v_add_f64 v[20:21], v[20:21], -v[22:23]
	v_fma_f64 v[30:31], v[30:31], -0.5, v[148:149]
	v_add_f64 v[28:29], v[28:29], v[22:23]
	v_add_f64 v[22:23], v[12:13], v[16:17]
	v_fma_f64 v[32:33], v[34:35], s[4:5], v[30:31]
	v_fma_f64 v[236:237], v[34:35], s[6:7], v[30:31]
	v_add_f64 v[30:31], v[150:151], v[24:25]
	v_add_f64 v[24:25], v[24:25], v[26:27]
	v_fma_f64 v[22:23], v[22:23], -0.5, v[144:145]
	v_add_f64 v[30:31], v[30:31], v[26:27]
	v_fma_f64 v[24:25], v[24:25], -0.5, v[150:151]
	v_add_f64 v[26:27], v[14:15], -v[18:19]
	v_fma_f64 v[34:35], v[20:21], s[6:7], v[24:25]
	v_fma_f64 v[238:239], v[20:21], s[4:5], v[24:25]
	;; [unrolled: 1-line block ×4, first 2 shown]
	v_add_f64 v[22:23], v[146:147], v[14:15]
	v_add_f64 v[14:15], v[14:15], v[18:19]
	;; [unrolled: 1-line block ×3, first 2 shown]
	v_add_f64 v[12:13], v[12:13], -v[16:17]
	v_add_f64 v[22:23], v[22:23], v[18:19]
	v_fma_f64 v[14:15], v[14:15], -0.5, v[146:147]
	v_add_f64 v[20:21], v[20:21], v[16:17]
	v_fma_f64 v[26:27], v[12:13], s[6:7], v[14:15]
	v_fma_f64 v[242:243], v[12:13], s[4:5], v[14:15]
	v_add_f64 v[12:13], v[4:5], v[6:7]
	v_add_f64 v[14:15], v[10:11], -v[8:9]
	v_fma_f64 v[12:13], v[12:13], -0.5, v[156:157]
	v_fma_f64 v[144:145], v[14:15], s[4:5], v[12:13]
	v_fma_f64 v[148:149], v[14:15], s[6:7], v[12:13]
	v_add_f64 v[12:13], v[10:11], v[8:9]
	v_add_f64 v[14:15], v[4:5], -v[6:7]
	v_fma_f64 v[12:13], v[12:13], -0.5, v[158:159]
	v_fma_f64 v[146:147], v[14:15], s[6:7], v[12:13]
	v_fma_f64 v[150:151], v[14:15], s[4:5], v[12:13]
	buffer_load_dword v12, off, s[40:43], 0 offset:740 ; 4-byte Folded Reload
	s_waitcnt vmcnt(0)
	ds_write_b128 v12, v[172:175]
	ds_write_b128 v12, v[184:187] offset:48
	ds_write_b128 v12, v[176:179] offset:96
	buffer_load_dword v12, off, s[40:43], 0 offset:744 ; 4-byte Folded Reload
	s_waitcnt vmcnt(0)
	ds_write_b128 v12, v[188:191]
	ds_write_b128 v12, v[192:195] offset:48
	ds_write_b128 v12, v[180:183] offset:96
	;; [unrolled: 5-line block ×8, first 2 shown]
	s_and_saveexec_b64 s[4:5], s[0:1]
	s_cbranch_execz .LBB0_25
; %bb.24:
	v_add_f64 v[0:1], v[158:159], v[10:11]
	v_add_f64 v[4:5], v[156:157], v[4:5]
	v_add_f64 v[2:3], v[0:1], v[8:9]
	v_add_f64 v[0:1], v[4:5], v[6:7]
	buffer_load_dword v4, off, s[40:43], 0 offset:772 ; 4-byte Folded Reload
	s_waitcnt vmcnt(0)
	v_lshlrev_b32_e32 v4, 4, v4
	ds_write_b128 v4, v[144:147] offset:48
	ds_write_b128 v4, v[0:3]
	ds_write_b128 v4, v[148:151] offset:96
.LBB0_25:
	s_or_b64 exec, exec, s[4:5]
	s_waitcnt lgkmcnt(0)
	; wave barrier
	s_waitcnt lgkmcnt(0)
	ds_read_b128 v[172:175], v212
	ds_read_b128 v[0:3], v212 offset:5040
	ds_read_b128 v[4:7], v212 offset:10080
	;; [unrolled: 1-line block ×24, first 2 shown]
	buffer_load_dword v60, off, s[40:43], 0 offset:824 ; 4-byte Folded Reload
	buffer_load_dword v61, off, s[40:43], 0 offset:828 ; 4-byte Folded Reload
	;; [unrolled: 1-line block ×4, first 2 shown]
	s_mov_b32 s14, 0x134454ff
	s_mov_b32 s15, 0xbfee6f0e
	s_mov_b32 s17, 0x3fee6f0e
	s_mov_b32 s16, s14
	s_mov_b32 s6, 0x4755a5e
	s_mov_b32 s7, 0xbfe2cf23
	s_mov_b32 s19, 0x3fe2cf23
	s_mov_b32 s18, s6
	s_mov_b32 s4, 0x372fe950
	s_mov_b32 s5, 0x3fd3c6ef
	s_waitcnt vmcnt(0) lgkmcnt(14)
	v_mul_f64 v[188:189], v[62:63], v[2:3]
	v_fma_f64 v[188:189], v[60:61], v[0:1], v[188:189]
	v_mul_f64 v[0:1], v[62:63], v[0:1]
	v_fma_f64 v[192:193], v[60:61], v[2:3], -v[0:1]
	buffer_load_dword v60, off, s[40:43], 0 offset:808 ; 4-byte Folded Reload
	buffer_load_dword v61, off, s[40:43], 0 offset:812 ; 4-byte Folded Reload
	;; [unrolled: 1-line block ×4, first 2 shown]
	s_waitcnt vmcnt(0)
	v_mul_f64 v[0:1], v[62:63], v[6:7]
	v_fma_f64 v[200:201], v[60:61], v[4:5], v[0:1]
	v_mul_f64 v[0:1], v[62:63], v[4:5]
	buffer_load_dword v2, off, s[40:43], 0 offset:792 ; 4-byte Folded Reload
	buffer_load_dword v3, off, s[40:43], 0 offset:796 ; 4-byte Folded Reload
	;; [unrolled: 1-line block ×4, first 2 shown]
	v_fma_f64 v[213:214], v[60:61], v[6:7], -v[0:1]
	s_waitcnt vmcnt(0)
	v_mul_f64 v[0:1], v[4:5], v[10:11]
	v_fma_f64 v[246:247], v[2:3], v[8:9], v[0:1]
	v_mul_f64 v[0:1], v[4:5], v[8:9]
	v_fma_f64 v[60:61], v[2:3], v[10:11], -v[0:1]
	buffer_load_dword v2, off, s[40:43], 0 offset:776 ; 4-byte Folded Reload
	buffer_load_dword v3, off, s[40:43], 0 offset:780 ; 4-byte Folded Reload
	buffer_load_dword v4, off, s[40:43], 0 offset:784 ; 4-byte Folded Reload
	buffer_load_dword v5, off, s[40:43], 0 offset:788 ; 4-byte Folded Reload
	s_waitcnt vmcnt(0)
	v_mul_f64 v[0:1], v[4:5], v[14:15]
	v_fma_f64 v[62:63], v[2:3], v[12:13], v[0:1]
	v_mul_f64 v[0:1], v[4:5], v[12:13]
	v_fma_f64 v[64:65], v[2:3], v[14:15], -v[0:1]
	buffer_load_dword v2, off, s[40:43], 0 offset:888 ; 4-byte Folded Reload
	buffer_load_dword v3, off, s[40:43], 0 offset:892 ; 4-byte Folded Reload
	buffer_load_dword v4, off, s[40:43], 0 offset:896 ; 4-byte Folded Reload
	buffer_load_dword v5, off, s[40:43], 0 offset:900 ; 4-byte Folded Reload
	;; [unrolled: 9-line block ×6, first 2 shown]
	s_waitcnt vmcnt(0) lgkmcnt(13)
	v_mul_f64 v[0:1], v[4:5], v[34:35]
	v_fma_f64 v[210:211], v[2:3], v[32:33], v[0:1]
	v_mul_f64 v[0:1], v[4:5], v[32:33]
	v_fma_f64 v[16:17], v[2:3], v[34:35], -v[0:1]
	buffer_load_dword v2, off, s[40:43], 0 offset:936 ; 4-byte Folded Reload
	buffer_load_dword v3, off, s[40:43], 0 offset:940 ; 4-byte Folded Reload
	buffer_load_dword v4, off, s[40:43], 0 offset:944 ; 4-byte Folded Reload
	buffer_load_dword v5, off, s[40:43], 0 offset:948 ; 4-byte Folded Reload
	s_waitcnt vmcnt(0) lgkmcnt(12)
	v_mul_f64 v[0:1], v[4:5], v[42:43]
	v_fma_f64 v[226:227], v[2:3], v[40:41], v[0:1]
	v_mul_f64 v[0:1], v[4:5], v[40:41]
	v_fma_f64 v[34:35], v[2:3], v[42:43], -v[0:1]
	buffer_load_dword v2, off, s[40:43], 0 offset:920 ; 4-byte Folded Reload
	buffer_load_dword v3, off, s[40:43], 0 offset:924 ; 4-byte Folded Reload
	buffer_load_dword v4, off, s[40:43], 0 offset:928 ; 4-byte Folded Reload
	buffer_load_dword v5, off, s[40:43], 0 offset:932 ; 4-byte Folded Reload
	;; [unrolled: 9-line block ×4, first 2 shown]
	s_waitcnt vmcnt(0) lgkmcnt(8)
	v_mul_f64 v[0:1], v[4:5], v[170:171]
	v_fma_f64 v[18:19], v[2:3], v[168:169], v[0:1]
	v_mul_f64 v[0:1], v[4:5], v[168:169]
	buffer_load_dword v4, off, s[40:43], 0 offset:1000 ; 4-byte Folded Reload
	buffer_load_dword v5, off, s[40:43], 0 offset:1004 ; 4-byte Folded Reload
	;; [unrolled: 1-line block ×4, first 2 shown]
	v_fma_f64 v[0:1], v[2:3], v[170:171], -v[0:1]
	s_waitcnt vmcnt(0) lgkmcnt(7)
	v_mul_f64 v[2:3], v[6:7], v[178:179]
	v_fma_f64 v[28:29], v[4:5], v[176:177], v[2:3]
	v_mul_f64 v[2:3], v[6:7], v[176:177]
	buffer_load_dword v6, off, s[40:43], 0 offset:984 ; 4-byte Folded Reload
	buffer_load_dword v7, off, s[40:43], 0 offset:988 ; 4-byte Folded Reload
	;; [unrolled: 1-line block ×12, first 2 shown]
	v_fma_f64 v[4:5], v[4:5], v[178:179], -v[2:3]
	s_waitcnt vmcnt(8) lgkmcnt(6)
	v_mul_f64 v[2:3], v[8:9], v[186:187]
	v_fma_f64 v[30:31], v[6:7], v[184:185], v[2:3]
	v_mul_f64 v[2:3], v[8:9], v[184:185]
	v_fma_f64 v[8:9], v[6:7], v[186:187], -v[2:3]
	s_waitcnt vmcnt(4) lgkmcnt(5)
	v_mul_f64 v[2:3], v[12:13], v[244:245]
	s_waitcnt vmcnt(0) lgkmcnt(3)
	v_mul_f64 v[6:7], v[22:23], v[44:45]
	v_fma_f64 v[32:33], v[10:11], v[242:243], v[2:3]
	v_mul_f64 v[2:3], v[12:13], v[242:243]
	v_fma_f64 v[12:13], v[10:11], v[244:245], -v[2:3]
	v_mul_f64 v[2:3], v[22:23], v[46:47]
	v_fma_f64 v[10:11], v[20:21], v[46:47], -v[6:7]
	v_add_f64 v[46:47], v[213:214], -v[60:61]
	v_fma_f64 v[2:3], v[20:21], v[44:45], v[2:3]
	buffer_load_dword v20, off, s[40:43], 0 offset:1064 ; 4-byte Folded Reload
	buffer_load_dword v21, off, s[40:43], 0 offset:1068 ; 4-byte Folded Reload
	;; [unrolled: 1-line block ×8, first 2 shown]
	s_waitcnt vmcnt(4) lgkmcnt(2)
	v_mul_f64 v[6:7], v[22:23], v[50:51]
	v_mul_f64 v[14:15], v[22:23], v[48:49]
	v_fma_f64 v[6:7], v[20:21], v[48:49], v[6:7]
	v_fma_f64 v[14:15], v[20:21], v[50:51], -v[14:15]
	s_waitcnt vmcnt(0) lgkmcnt(1)
	v_mul_f64 v[20:21], v[42:43], v[54:55]
	v_add_f64 v[48:49], v[188:189], -v[200:201]
	v_add_f64 v[50:51], v[62:63], -v[246:247]
	v_fma_f64 v[24:25], v[40:41], v[52:53], v[20:21]
	v_mul_f64 v[20:21], v[42:43], v[52:53]
	v_add_f64 v[48:49], v[48:49], v[50:51]
	v_add_f64 v[50:51], v[246:247], -v[62:63]
	v_fma_f64 v[20:21], v[40:41], v[54:55], -v[20:21]
	buffer_load_dword v40, off, s[40:43], 0 offset:1032 ; 4-byte Folded Reload
	buffer_load_dword v41, off, s[40:43], 0 offset:1036 ; 4-byte Folded Reload
	;; [unrolled: 1-line block ×4, first 2 shown]
	s_waitcnt lgkmcnt(0)
	; wave barrier
	s_waitcnt vmcnt(0) lgkmcnt(0)
	v_mul_f64 v[22:23], v[42:43], v[58:59]
	v_fma_f64 v[26:27], v[40:41], v[56:57], v[22:23]
	v_mul_f64 v[22:23], v[42:43], v[56:57]
	v_add_f64 v[42:43], v[192:193], -v[64:65]
	v_fma_f64 v[22:23], v[40:41], v[58:59], -v[22:23]
	v_add_f64 v[40:41], v[172:173], v[188:189]
	v_add_f64 v[40:41], v[40:41], v[200:201]
	;; [unrolled: 1-line block ×5, first 2 shown]
	v_fma_f64 v[40:41], v[40:41], -0.5, v[172:173]
	v_fma_f64 v[44:45], v[42:43], s[14:15], v[40:41]
	v_fma_f64 v[40:41], v[42:43], s[16:17], v[40:41]
	v_fma_f64 v[44:45], v[46:47], s[6:7], v[44:45]
	v_fma_f64 v[40:41], v[46:47], s[18:19], v[40:41]
	v_fma_f64 v[168:169], v[48:49], s[4:5], v[44:45]
	v_fma_f64 v[164:165], v[48:49], s[4:5], v[40:41]
	v_add_f64 v[40:41], v[188:189], v[62:63]
	v_add_f64 v[48:49], v[200:201], -v[188:189]
	v_fma_f64 v[40:41], v[40:41], -0.5, v[172:173]
	v_add_f64 v[48:49], v[48:49], v[50:51]
	v_add_f64 v[50:51], v[64:65], -v[60:61]
	v_fma_f64 v[44:45], v[46:47], s[16:17], v[40:41]
	v_fma_f64 v[40:41], v[46:47], s[14:15], v[40:41]
	v_add_f64 v[46:47], v[200:201], -v[246:247]
	v_fma_f64 v[44:45], v[42:43], s[6:7], v[44:45]
	v_fma_f64 v[40:41], v[42:43], s[18:19], v[40:41]
	v_add_f64 v[42:43], v[188:189], -v[62:63]
	v_fma_f64 v[176:177], v[48:49], s[4:5], v[44:45]
	v_fma_f64 v[172:173], v[48:49], s[4:5], v[40:41]
	v_add_f64 v[40:41], v[174:175], v[192:193]
	v_add_f64 v[48:49], v[192:193], -v[213:214]
	v_add_f64 v[40:41], v[40:41], v[213:214]
	v_add_f64 v[48:49], v[48:49], v[50:51]
	v_add_f64 v[50:51], v[60:61], -v[64:65]
	v_add_f64 v[40:41], v[40:41], v[60:61]
	v_add_f64 v[162:163], v[40:41], v[64:65]
	v_add_f64 v[40:41], v[213:214], v[60:61]
	v_fma_f64 v[40:41], v[40:41], -0.5, v[174:175]
	v_fma_f64 v[44:45], v[42:43], s[16:17], v[40:41]
	v_fma_f64 v[40:41], v[42:43], s[14:15], v[40:41]
	v_fma_f64 v[44:45], v[46:47], s[18:19], v[44:45]
	v_fma_f64 v[40:41], v[46:47], s[6:7], v[40:41]
	v_fma_f64 v[170:171], v[48:49], s[4:5], v[44:45]
	v_fma_f64 v[166:167], v[48:49], s[4:5], v[40:41]
	v_add_f64 v[40:41], v[192:193], v[64:65]
	v_add_f64 v[48:49], v[213:214], -v[192:193]
	v_fma_f64 v[40:41], v[40:41], -0.5, v[174:175]
	v_add_f64 v[48:49], v[48:49], v[50:51]
	v_add_f64 v[50:51], v[232:233], -v[224:225]
	v_fma_f64 v[44:45], v[46:47], s[14:15], v[40:41]
	v_fma_f64 v[40:41], v[46:47], s[16:17], v[40:41]
	v_add_f64 v[46:47], v[204:205], -v[206:207]
	v_fma_f64 v[44:45], v[42:43], s[18:19], v[44:45]
	v_fma_f64 v[40:41], v[42:43], s[6:7], v[40:41]
	v_add_f64 v[42:43], v[202:203], -v[208:209]
	v_fma_f64 v[178:179], v[48:49], s[4:5], v[44:45]
	v_fma_f64 v[174:175], v[48:49], s[4:5], v[40:41]
	v_add_f64 v[40:41], v[196:197], v[190:191]
	v_add_f64 v[48:49], v[190:191], -v[194:195]
	v_add_f64 v[40:41], v[40:41], v[194:195]
	v_add_f64 v[48:49], v[48:49], v[50:51]
	v_add_f64 v[50:51], v[224:225], -v[232:233]
	v_add_f64 v[40:41], v[40:41], v[224:225]
	v_add_f64 v[184:185], v[40:41], v[232:233]
	v_add_f64 v[40:41], v[194:195], v[224:225]
	;; [unrolled: 28-line block ×4, first 2 shown]
	v_fma_f64 v[40:41], v[40:41], -0.5, v[180:181]
	v_fma_f64 v[44:45], v[42:43], s[14:15], v[40:41]
	v_fma_f64 v[40:41], v[42:43], s[16:17], v[40:41]
	;; [unrolled: 1-line block ×6, first 2 shown]
	v_add_f64 v[40:41], v[210:211], v[240:241]
	v_add_f64 v[48:49], v[226:227], -v[210:211]
	v_fma_f64 v[40:41], v[40:41], -0.5, v[180:181]
	v_add_f64 v[48:49], v[48:49], v[50:51]
	v_add_f64 v[50:51], v[236:237], -v[234:235]
	v_fma_f64 v[44:45], v[46:47], s[16:17], v[40:41]
	v_fma_f64 v[40:41], v[46:47], s[14:15], v[40:41]
	v_add_f64 v[46:47], v[226:227], -v[238:239]
	v_fma_f64 v[44:45], v[42:43], s[6:7], v[44:45]
	v_fma_f64 v[40:41], v[42:43], s[18:19], v[40:41]
	;; [unrolled: 3-line block ×3, first 2 shown]
	v_add_f64 v[40:41], v[182:183], v[16:17]
	v_add_f64 v[48:49], v[16:17], -v[34:35]
	v_add_f64 v[40:41], v[40:41], v[34:35]
	v_add_f64 v[48:49], v[48:49], v[50:51]
	;; [unrolled: 1-line block ×5, first 2 shown]
	v_fma_f64 v[40:41], v[40:41], -0.5, v[182:183]
	v_fma_f64 v[44:45], v[42:43], s[16:17], v[40:41]
	v_fma_f64 v[40:41], v[42:43], s[14:15], v[40:41]
	;; [unrolled: 1-line block ×6, first 2 shown]
	v_add_f64 v[40:41], v[16:17], v[236:237]
	v_add_f64 v[16:17], v[34:35], -v[16:17]
	v_add_f64 v[34:35], v[234:235], -v[236:237]
	v_fma_f64 v[40:41], v[40:41], -0.5, v[182:183]
	v_add_f64 v[16:17], v[16:17], v[34:35]
	v_fma_f64 v[44:45], v[46:47], s[14:15], v[40:41]
	v_fma_f64 v[34:35], v[46:47], s[16:17], v[40:41]
	v_add_f64 v[46:47], v[32:33], -v[30:31]
	v_fma_f64 v[44:45], v[42:43], s[18:19], v[44:45]
	v_fma_f64 v[34:35], v[42:43], s[6:7], v[34:35]
	v_add_f64 v[42:43], v[4:5], -v[8:9]
	v_fma_f64 v[234:235], v[16:17], s[4:5], v[44:45]
	v_fma_f64 v[182:183], v[16:17], s[4:5], v[34:35]
	v_add_f64 v[16:17], v[156:157], v[18:19]
	v_add_f64 v[34:35], v[0:1], -v[12:13]
	v_add_f64 v[44:45], v[18:19], -v[28:29]
	v_add_f64 v[16:17], v[16:17], v[28:29]
	v_add_f64 v[44:45], v[44:45], v[46:47]
	v_add_f64 v[46:47], v[30:31], -v[32:33]
	v_add_f64 v[16:17], v[16:17], v[30:31]
	v_add_f64 v[236:237], v[16:17], v[32:33]
	;; [unrolled: 1-line block ×3, first 2 shown]
	v_fma_f64 v[16:17], v[16:17], -0.5, v[156:157]
	v_fma_f64 v[40:41], v[34:35], s[14:15], v[16:17]
	v_fma_f64 v[16:17], v[34:35], s[16:17], v[16:17]
	;; [unrolled: 1-line block ×6, first 2 shown]
	v_add_f64 v[16:17], v[18:19], v[32:33]
	v_add_f64 v[44:45], v[28:29], -v[18:19]
	v_add_f64 v[18:19], v[18:19], -v[32:33]
	v_add_f64 v[28:29], v[28:29], -v[30:31]
	v_fma_f64 v[16:17], v[16:17], -0.5, v[156:157]
	v_add_f64 v[44:45], v[44:45], v[46:47]
	v_fma_f64 v[40:41], v[42:43], s[16:17], v[16:17]
	v_fma_f64 v[16:17], v[42:43], s[14:15], v[16:17]
	v_fma_f64 v[40:41], v[34:35], s[6:7], v[40:41]
	v_fma_f64 v[16:17], v[34:35], s[18:19], v[16:17]
	v_add_f64 v[34:35], v[158:159], v[0:1]
	v_fma_f64 v[156:157], v[44:45], s[4:5], v[40:41]
	v_add_f64 v[40:41], v[12:13], -v[8:9]
	v_add_f64 v[34:35], v[34:35], v[4:5]
	v_fma_f64 v[16:17], v[44:45], s[4:5], v[16:17]
	v_add_f64 v[34:35], v[34:35], v[8:9]
	v_add_f64 v[238:239], v[34:35], v[12:13]
	;; [unrolled: 1-line block ×3, first 2 shown]
	v_fma_f64 v[34:35], v[34:35], -0.5, v[158:159]
	v_fma_f64 v[32:33], v[18:19], s[16:17], v[34:35]
	v_fma_f64 v[30:31], v[28:29], s[18:19], v[32:33]
	v_add_f64 v[32:33], v[0:1], -v[4:5]
	v_add_f64 v[32:33], v[32:33], v[40:41]
	v_add_f64 v[40:41], v[24:25], -v[26:27]
	v_fma_f64 v[246:247], v[32:33], s[4:5], v[30:31]
	v_fma_f64 v[30:31], v[18:19], s[14:15], v[34:35]
	v_add_f64 v[34:35], v[6:7], -v[2:3]
	v_fma_f64 v[30:31], v[28:29], s[6:7], v[30:31]
	v_add_f64 v[34:35], v[34:35], v[40:41]
	v_fma_f64 v[242:243], v[32:33], s[4:5], v[30:31]
	v_add_f64 v[30:31], v[0:1], v[12:13]
	v_add_f64 v[0:1], v[4:5], -v[0:1]
	v_add_f64 v[4:5], v[8:9], -v[12:13]
	;; [unrolled: 1-line block ×4, first 2 shown]
	v_fma_f64 v[30:31], v[30:31], -0.5, v[158:159]
	v_add_f64 v[0:1], v[0:1], v[4:5]
	v_fma_f64 v[32:33], v[28:29], s[14:15], v[30:31]
	v_fma_f64 v[4:5], v[28:29], s[16:17], v[30:31]
	v_add_f64 v[30:31], v[14:15], -v[20:21]
	v_fma_f64 v[32:33], v[18:19], s[18:19], v[32:33]
	v_fma_f64 v[4:5], v[18:19], s[6:7], v[4:5]
	;; [unrolled: 1-line block ×4, first 2 shown]
	v_add_f64 v[0:1], v[152:153], v[2:3]
	v_add_f64 v[32:33], v[26:27], -v[24:25]
	v_add_f64 v[0:1], v[0:1], v[6:7]
	v_add_f64 v[8:9], v[8:9], v[32:33]
	;; [unrolled: 1-line block ×5, first 2 shown]
	v_add_f64 v[24:25], v[6:7], -v[24:25]
	v_add_f64 v[6:7], v[10:11], -v[14:15]
	v_fma_f64 v[4:5], v[0:1], -0.5, v[152:153]
	v_fma_f64 v[0:1], v[12:13], s[14:15], v[4:5]
	v_fma_f64 v[4:5], v[12:13], s[16:17], v[4:5]
	;; [unrolled: 1-line block ×6, first 2 shown]
	v_add_f64 v[8:9], v[2:3], v[26:27]
	v_add_f64 v[26:27], v[2:3], -v[26:27]
	v_fma_f64 v[32:33], v[8:9], -0.5, v[152:153]
	v_fma_f64 v[8:9], v[30:31], s[16:17], v[32:33]
	v_fma_f64 v[30:31], v[30:31], s[14:15], v[32:33]
	v_add_f64 v[32:33], v[14:15], v[20:21]
	v_fma_f64 v[8:9], v[12:13], s[6:7], v[8:9]
	v_fma_f64 v[12:13], v[12:13], s[18:19], v[30:31]
	v_fma_f64 v[32:33], v[32:33], -0.5, v[154:155]
	v_add_f64 v[30:31], v[154:155], v[10:11]
	v_fma_f64 v[8:9], v[34:35], s[4:5], v[8:9]
	v_fma_f64 v[12:13], v[34:35], s[4:5], v[12:13]
	;; [unrolled: 1-line block ×3, first 2 shown]
	v_add_f64 v[34:35], v[22:23], -v[20:21]
	v_fma_f64 v[32:33], v[26:27], s[14:15], v[32:33]
	v_add_f64 v[30:31], v[30:31], v[14:15]
	v_fma_f64 v[2:3], v[24:25], s[18:19], v[2:3]
	v_add_f64 v[6:7], v[6:7], v[34:35]
	;; [unrolled: 2-line block ×3, first 2 shown]
	v_fma_f64 v[2:3], v[6:7], s[4:5], v[2:3]
	v_fma_f64 v[6:7], v[6:7], s[4:5], v[32:33]
	v_add_f64 v[32:33], v[10:11], v[22:23]
	v_add_f64 v[10:11], v[14:15], -v[10:11]
	v_add_f64 v[14:15], v[20:21], -v[22:23]
	v_add_f64 v[30:31], v[30:31], v[22:23]
	v_fma_f64 v[32:33], v[32:33], -0.5, v[154:155]
	v_add_f64 v[14:15], v[10:11], v[14:15]
	v_fma_f64 v[34:35], v[24:25], s[14:15], v[32:33]
	v_fma_f64 v[20:21], v[24:25], s[16:17], v[32:33]
	;; [unrolled: 1-line block ×6, first 2 shown]
	buffer_load_dword v20, off, s[40:43], 0 offset:1096 ; 4-byte Folded Reload
	s_waitcnt vmcnt(0)
	ds_write_b128 v20, v[160:163]
	ds_write_b128 v20, v[168:171] offset:144
	ds_write_b128 v20, v[176:179] offset:288
	ds_write_b128 v20, v[172:175] offset:432
	ds_write_b128 v20, v[164:167] offset:576
	ds_write_b128 v66, v[184:187]
	ds_write_b128 v66, v[192:195] offset:144
	ds_write_b128 v66, v[200:203] offset:288
	ds_write_b128 v66, v[196:199] offset:432
	ds_write_b128 v66, v[188:191] offset:576
	;; [unrolled: 5-line block ×3, first 2 shown]
	buffer_load_dword v20, off, s[40:43], 0 offset:1100 ; 4-byte Folded Reload
	s_waitcnt vmcnt(0)
	ds_write_b128 v20, v[236:239]
	ds_write_b128 v20, v[244:247] offset:144
	ds_write_b128 v20, v[156:159] offset:288
	;; [unrolled: 1-line block ×4, first 2 shown]
	buffer_load_dword v16, off, s[40:43], 0 offset:1104 ; 4-byte Folded Reload
	s_waitcnt vmcnt(0)
	ds_write_b128 v16, v[28:31]
	ds_write_b128 v16, v[0:3] offset:144
	ds_write_b128 v16, v[8:11] offset:288
	;; [unrolled: 1-line block ×4, first 2 shown]
	s_waitcnt lgkmcnt(0)
	; wave barrier
	s_waitcnt lgkmcnt(0)
	ds_read_b128 v[160:163], v212
	ds_read_b128 v[232:235], v212 offset:3600
	ds_read_b128 v[224:227], v212 offset:7200
	;; [unrolled: 1-line block ×20, first 2 shown]
	s_and_saveexec_b64 s[4:5], s[2:3]
	s_cbranch_execz .LBB0_27
; %bb.26:
	ds_read_b128 v[0:3], v212 offset:3024
	ds_read_b128 v[8:11], v212 offset:6624
	;; [unrolled: 1-line block ×7, first 2 shown]
	s_waitcnt lgkmcnt(0)
	buffer_store_dword v32, off, s[40:43], 0 offset:4 ; 4-byte Folded Spill
	s_nop 0
	buffer_store_dword v33, off, s[40:43], 0 offset:8 ; 4-byte Folded Spill
	buffer_store_dword v34, off, s[40:43], 0 offset:12 ; 4-byte Folded Spill
	;; [unrolled: 1-line block ×3, first 2 shown]
.LBB0_27:
	s_or_b64 exec, exec, s[4:5]
	buffer_load_dword v40, off, s[40:43], 0 offset:1156 ; 4-byte Folded Reload
	buffer_load_dword v41, off, s[40:43], 0 offset:1160 ; 4-byte Folded Reload
	;; [unrolled: 1-line block ×16, first 2 shown]
	s_mov_b32 s16, 0x37e14327
	s_mov_b32 s6, 0x36b3c0b5
	;; [unrolled: 1-line block ×20, first 2 shown]
	s_waitcnt vmcnt(12) lgkmcnt(14)
	v_mul_f64 v[32:33], v[42:43], v[234:235]
	v_mul_f64 v[34:35], v[42:43], v[232:233]
	s_waitcnt vmcnt(8)
	v_mul_f64 v[42:43], v[46:47], v[224:225]
	v_fma_f64 v[32:33], v[40:41], v[232:233], v[32:33]
	v_fma_f64 v[34:35], v[40:41], v[234:235], -v[34:35]
	v_mul_f64 v[40:41], v[46:47], v[226:227]
	v_fma_f64 v[42:43], v[44:45], v[226:227], -v[42:43]
	s_waitcnt vmcnt(4)
	v_mul_f64 v[46:47], v[50:51], v[208:209]
	v_fma_f64 v[40:41], v[44:45], v[224:225], v[40:41]
	v_mul_f64 v[44:45], v[50:51], v[210:211]
	v_fma_f64 v[46:47], v[48:49], v[210:211], -v[46:47]
	s_waitcnt vmcnt(0)
	v_mul_f64 v[50:51], v[54:55], v[204:205]
	v_fma_f64 v[44:45], v[48:49], v[208:209], v[44:45]
	v_mul_f64 v[48:49], v[54:55], v[206:207]
	buffer_load_dword v54, off, s[40:43], 0 offset:1204 ; 4-byte Folded Reload
	buffer_load_dword v55, off, s[40:43], 0 offset:1208 ; 4-byte Folded Reload
	;; [unrolled: 1-line block ×4, first 2 shown]
	v_fma_f64 v[50:51], v[52:53], v[206:207], -v[50:51]
	v_fma_f64 v[48:49], v[52:53], v[204:205], v[48:49]
	s_waitcnt vmcnt(0)
	v_mul_f64 v[52:53], v[56:57], v[30:31]
	v_fma_f64 v[52:53], v[54:55], v[28:29], v[52:53]
	v_mul_f64 v[28:29], v[56:57], v[28:29]
	buffer_load_dword v56, off, s[40:43], 0 offset:1172 ; 4-byte Folded Reload
	buffer_load_dword v57, off, s[40:43], 0 offset:1176 ; 4-byte Folded Reload
	;; [unrolled: 1-line block ×12, first 2 shown]
	v_fma_f64 v[28:29], v[54:55], v[30:31], -v[28:29]
	s_waitcnt vmcnt(8)
	v_mul_f64 v[30:31], v[58:59], v[198:199]
	v_mul_f64 v[54:55], v[58:59], v[196:197]
	s_waitcnt vmcnt(4) lgkmcnt(12)
	v_mul_f64 v[58:59], v[62:63], v[200:201]
	v_fma_f64 v[30:31], v[56:57], v[196:197], v[30:31]
	v_fma_f64 v[54:55], v[56:57], v[198:199], -v[54:55]
	v_mul_f64 v[56:57], v[62:63], v[202:203]
	v_fma_f64 v[58:59], v[60:61], v[202:203], -v[58:59]
	s_waitcnt vmcnt(0) lgkmcnt(11)
	v_mul_f64 v[62:63], v[66:67], v[192:193]
	v_fma_f64 v[56:57], v[60:61], v[200:201], v[56:57]
	v_mul_f64 v[60:61], v[66:67], v[194:195]
	v_fma_f64 v[62:63], v[64:65], v[194:195], -v[62:63]
	v_fma_f64 v[60:61], v[64:65], v[192:193], v[60:61]
	buffer_load_dword v192, off, s[40:43], 0 offset:1220 ; 4-byte Folded Reload
	buffer_load_dword v193, off, s[40:43], 0 offset:1224 ; 4-byte Folded Reload
	;; [unrolled: 1-line block ×4, first 2 shown]
	s_waitcnt vmcnt(0) lgkmcnt(10)
	v_mul_f64 v[64:65], v[194:195], v[190:191]
	v_mul_f64 v[66:67], v[194:195], v[188:189]
	v_fma_f64 v[64:65], v[192:193], v[188:189], v[64:65]
	v_fma_f64 v[66:67], v[192:193], v[190:191], -v[66:67]
	buffer_load_dword v190, off, s[40:43], 0 offset:1188 ; 4-byte Folded Reload
	buffer_load_dword v191, off, s[40:43], 0 offset:1192 ; 4-byte Folded Reload
	buffer_load_dword v192, off, s[40:43], 0 offset:1196 ; 4-byte Folded Reload
	buffer_load_dword v193, off, s[40:43], 0 offset:1200 ; 4-byte Folded Reload
	s_waitcnt vmcnt(0) lgkmcnt(9)
	v_mul_f64 v[188:189], v[192:193], v[186:187]
	v_fma_f64 v[188:189], v[190:191], v[184:185], v[188:189]
	v_mul_f64 v[184:185], v[192:193], v[184:185]
	v_fma_f64 v[184:185], v[190:191], v[186:187], -v[184:185]
	buffer_load_dword v190, off, s[40:43], 0 offset:1268 ; 4-byte Folded Reload
	buffer_load_dword v191, off, s[40:43], 0 offset:1272 ; 4-byte Folded Reload
	buffer_load_dword v192, off, s[40:43], 0 offset:1276 ; 4-byte Folded Reload
	buffer_load_dword v193, off, s[40:43], 0 offset:1280 ; 4-byte Folded Reload
	s_waitcnt vmcnt(0) lgkmcnt(8)
	v_mul_f64 v[186:187], v[192:193], v[182:183]
	v_fma_f64 v[186:187], v[190:191], v[180:181], v[186:187]
	v_mul_f64 v[180:181], v[192:193], v[180:181]
	;; [unrolled: 9-line block ×3, first 2 shown]
	v_fma_f64 v[176:177], v[190:191], v[178:179], -v[176:177]
	s_waitcnt lgkmcnt(5)
	v_mul_f64 v[178:179], v[86:87], v[26:27]
	v_fma_f64 v[178:179], v[84:85], v[24:25], v[178:179]
	v_mul_f64 v[24:25], v[86:87], v[24:25]
	v_fma_f64 v[84:85], v[84:85], v[26:27], -v[24:25]
	s_waitcnt lgkmcnt(4)
	v_mul_f64 v[24:25], v[78:79], v[22:23]
	v_add_f64 v[26:27], v[42:43], v[28:29]
	v_add_f64 v[28:29], v[42:43], -v[28:29]
	v_add_f64 v[42:43], v[50:51], -v[46:47]
	v_fma_f64 v[86:87], v[76:77], v[20:21], v[24:25]
	v_mul_f64 v[20:21], v[78:79], v[20:21]
	v_fma_f64 v[76:77], v[76:77], v[22:23], -v[20:21]
	buffer_load_dword v22, off, s[40:43], 0 offset:1300 ; 4-byte Folded Reload
	buffer_load_dword v23, off, s[40:43], 0 offset:1304 ; 4-byte Folded Reload
	;; [unrolled: 1-line block ×4, first 2 shown]
	s_waitcnt lgkmcnt(3)
	v_mul_f64 v[20:21], v[70:71], v[174:175]
	s_waitcnt lgkmcnt(0)
	; wave barrier
	s_waitcnt lgkmcnt(0)
	v_fma_f64 v[78:79], v[68:69], v[172:173], v[20:21]
	v_mul_f64 v[20:21], v[70:71], v[172:173]
	v_add_f64 v[70:71], v[42:43], -v[28:29]
	v_fma_f64 v[172:173], v[68:69], v[174:175], -v[20:21]
	v_mul_f64 v[70:71], v[70:71], s[20:21]
	s_waitcnt vmcnt(0)
	v_mul_f64 v[20:21], v[24:25], v[170:171]
	v_fma_f64 v[174:175], v[22:23], v[168:169], v[20:21]
	v_mul_f64 v[20:21], v[24:25], v[168:169]
	v_add_f64 v[24:25], v[40:41], v[52:53]
	v_fma_f64 v[168:169], v[22:23], v[170:171], -v[20:21]
	v_mul_f64 v[20:21], v[82:83], v[166:167]
	v_add_f64 v[22:23], v[34:35], -v[54:55]
	v_fma_f64 v[170:171], v[80:81], v[164:165], v[20:21]
	v_mul_f64 v[20:21], v[82:83], v[164:165]
	v_fma_f64 v[80:81], v[80:81], v[166:167], -v[20:21]
	v_mul_f64 v[20:21], v[74:75], v[18:19]
	v_fma_f64 v[82:83], v[72:73], v[16:17], v[20:21]
	v_mul_f64 v[16:17], v[74:75], v[16:17]
	v_add_f64 v[20:21], v[32:33], -v[30:31]
	v_fma_f64 v[164:165], v[72:73], v[18:19], -v[16:17]
	v_add_f64 v[16:17], v[32:33], v[30:31]
	v_add_f64 v[18:19], v[34:35], v[54:55]
	v_add_f64 v[30:31], v[40:41], -v[52:53]
	v_add_f64 v[32:33], v[44:45], v[48:49]
	v_add_f64 v[34:35], v[46:47], v[50:51]
	v_add_f64 v[40:41], v[48:49], -v[44:45]
	;; [unrolled: 3-line block ×3, first 2 shown]
	v_add_f64 v[50:51], v[26:27], -v[18:19]
	v_add_f64 v[52:53], v[16:17], -v[32:33]
	;; [unrolled: 1-line block ×5, first 2 shown]
	v_add_f64 v[16:17], v[40:41], v[30:31]
	v_add_f64 v[18:19], v[42:43], v[28:29]
	v_add_f64 v[68:69], v[40:41], -v[30:31]
	v_add_f64 v[30:31], v[30:31], -v[20:21]
	;; [unrolled: 1-line block ×3, first 2 shown]
	v_add_f64 v[32:33], v[32:33], v[44:45]
	v_add_f64 v[34:35], v[34:35], v[46:47]
	v_add_f64 v[40:41], v[20:21], -v[40:41]
	v_add_f64 v[42:43], v[22:23], -v[42:43]
	v_add_f64 v[20:21], v[16:17], v[20:21]
	v_add_f64 v[22:23], v[18:19], v[22:23]
	v_mul_f64 v[44:45], v[52:53], s[16:17]
	v_mul_f64 v[46:47], v[54:55], s[16:17]
	v_add_f64 v[16:17], v[160:161], v[32:33]
	v_add_f64 v[18:19], v[162:163], v[34:35]
	v_mul_f64 v[52:53], v[24:25], s[6:7]
	v_mul_f64 v[54:55], v[26:27], s[6:7]
	;; [unrolled: 1-line block ×5, first 2 shown]
	v_fma_f64 v[24:25], v[24:25], s[6:7], v[44:45]
	v_fma_f64 v[32:33], v[32:33], s[26:27], v[16:17]
	;; [unrolled: 1-line block ×4, first 2 shown]
	v_fma_f64 v[52:53], v[48:49], s[14:15], -v[52:53]
	v_fma_f64 v[54:55], v[50:51], s[14:15], -v[54:55]
	;; [unrolled: 1-line block ×4, first 2 shown]
	v_fma_f64 v[48:49], v[40:41], s[28:29], v[68:69]
	v_fma_f64 v[50:51], v[42:43], s[28:29], v[70:71]
	v_fma_f64 v[30:31], v[30:31], s[4:5], -v[68:69]
	v_fma_f64 v[28:29], v[28:29], s[4:5], -v[70:71]
	v_fma_f64 v[40:41], v[40:41], s[24:25], -v[72:73]
	v_fma_f64 v[42:43], v[42:43], s[24:25], -v[74:75]
	v_add_f64 v[68:69], v[24:25], v[32:33]
	v_add_f64 v[70:71], v[26:27], v[34:35]
	;; [unrolled: 1-line block ×6, first 2 shown]
	v_fma_f64 v[48:49], v[20:21], s[22:23], v[48:49]
	v_fma_f64 v[50:51], v[22:23], s[22:23], v[50:51]
	;; [unrolled: 1-line block ×6, first 2 shown]
	v_add_f64 v[22:23], v[70:71], -v[48:49]
	v_add_f64 v[20:21], v[50:51], v[68:69]
	v_add_f64 v[30:31], v[34:35], v[54:55]
	v_add_f64 v[28:29], v[52:53], -v[32:33]
	v_add_f64 v[26:27], v[46:47], -v[72:73]
	v_add_f64 v[24:25], v[40:41], v[44:45]
	v_add_f64 v[32:33], v[32:33], v[52:53]
	v_add_f64 v[34:35], v[54:55], -v[34:35]
	v_add_f64 v[40:41], v[44:45], -v[40:41]
	v_add_f64 v[42:43], v[72:73], v[46:47]
	v_add_f64 v[44:45], v[68:69], -v[50:51]
	v_add_f64 v[46:47], v[48:49], v[70:71]
	v_add_f64 v[48:49], v[56:57], v[182:183]
	v_add_f64 v[50:51], v[58:59], v[176:177]
	v_add_f64 v[52:53], v[56:57], -v[182:183]
	v_add_f64 v[54:55], v[58:59], -v[176:177]
	v_add_f64 v[56:57], v[60:61], v[186:187]
	v_add_f64 v[58:59], v[62:63], v[180:181]
	v_add_f64 v[60:61], v[60:61], -v[186:187]
	v_add_f64 v[62:63], v[62:63], -v[180:181]
	v_add_f64 v[68:69], v[64:65], v[188:189]
	v_add_f64 v[70:71], v[66:67], v[184:185]
	;; [unrolled: 4-line block ×3, first 2 shown]
	v_add_f64 v[160:161], v[56:57], -v[48:49]
	v_add_f64 v[162:163], v[58:59], -v[50:51]
	;; [unrolled: 1-line block ×6, first 2 shown]
	v_add_f64 v[48:49], v[64:65], v[60:61]
	v_add_f64 v[50:51], v[66:67], v[62:63]
	v_add_f64 v[180:181], v[64:65], -v[60:61]
	v_add_f64 v[182:183], v[66:67], -v[62:63]
	v_add_f64 v[68:69], v[68:69], v[72:73]
	v_add_f64 v[70:71], v[70:71], v[74:75]
	v_add_f64 v[64:65], v[52:53], -v[64:65]
	v_add_f64 v[66:67], v[54:55], -v[66:67]
	;; [unrolled: 1-line block ×4, first 2 shown]
	v_add_f64 v[52:53], v[48:49], v[52:53]
	v_add_f64 v[54:55], v[50:51], v[54:55]
	;; [unrolled: 1-line block ×4, first 2 shown]
	v_mul_f64 v[72:73], v[166:167], s[16:17]
	v_mul_f64 v[74:75], v[176:177], s[16:17]
	;; [unrolled: 1-line block ×8, first 2 shown]
	v_fma_f64 v[68:69], v[68:69], s[26:27], v[48:49]
	v_fma_f64 v[70:71], v[70:71], s[26:27], v[50:51]
	;; [unrolled: 1-line block ×4, first 2 shown]
	v_fma_f64 v[156:157], v[160:161], s[14:15], -v[156:157]
	v_fma_f64 v[158:159], v[162:163], s[14:15], -v[158:159]
	;; [unrolled: 1-line block ×4, first 2 shown]
	v_fma_f64 v[160:161], v[64:65], s[28:29], v[166:167]
	v_fma_f64 v[162:163], v[66:67], s[28:29], v[176:177]
	v_fma_f64 v[60:61], v[60:61], s[4:5], -v[166:167]
	v_fma_f64 v[62:63], v[62:63], s[4:5], -v[176:177]
	;; [unrolled: 1-line block ×4, first 2 shown]
	v_add_f64 v[166:167], v[56:57], v[68:69]
	v_add_f64 v[176:177], v[58:59], v[70:71]
	;; [unrolled: 1-line block ×6, first 2 shown]
	v_fma_f64 v[74:75], v[52:53], s[22:23], v[160:161]
	v_fma_f64 v[72:73], v[54:55], s[22:23], v[162:163]
	;; [unrolled: 1-line block ×6, first 2 shown]
	v_add_f64 v[54:55], v[176:177], -v[74:75]
	v_add_f64 v[52:53], v[72:73], v[166:167]
	v_add_f64 v[62:63], v[160:161], v[158:159]
	v_add_f64 v[60:61], v[156:157], -v[162:163]
	v_add_f64 v[64:65], v[162:163], v[156:157]
	v_add_f64 v[66:67], v[158:159], -v[160:161]
	v_add_f64 v[156:157], v[178:179], v[82:83]
	v_add_f64 v[160:161], v[86:87], v[170:171]
	v_add_f64 v[72:73], v[166:167], -v[72:73]
	v_add_f64 v[158:159], v[84:85], v[164:165]
	v_add_f64 v[84:85], v[84:85], -v[164:165]
	;; [unrolled: 2-line block ×3, first 2 shown]
	v_add_f64 v[76:77], v[76:77], -v[80:81]
	v_add_f64 v[80:81], v[78:79], v[174:175]
	v_add_f64 v[164:165], v[172:173], v[168:169]
	v_add_f64 v[78:79], v[174:175], -v[78:79]
	v_add_f64 v[166:167], v[168:169], -v[172:173]
	v_add_f64 v[168:169], v[160:161], v[156:157]
	v_add_f64 v[56:57], v[182:183], v[68:69]
	v_add_f64 v[58:59], v[70:71], -v[180:181]
	v_add_f64 v[68:69], v[68:69], -v[182:183]
	v_add_f64 v[70:71], v[180:181], v[70:71]
	v_add_f64 v[82:83], v[178:179], -v[82:83]
	v_add_f64 v[170:171], v[162:163], v[158:159]
	v_add_f64 v[172:173], v[160:161], -v[156:157]
	v_add_f64 v[156:157], v[156:157], -v[80:81]
	v_add_f64 v[160:161], v[80:81], -v[160:161]
	v_add_f64 v[180:181], v[78:79], -v[86:87]
	v_add_f64 v[182:183], v[166:167], -v[76:77]
	v_add_f64 v[80:81], v[80:81], v[168:169]
	v_add_f64 v[74:75], v[74:75], v[176:177]
	v_add_f64 v[174:175], v[162:163], -v[158:159]
	v_add_f64 v[158:159], v[158:159], -v[164:165]
	;; [unrolled: 1-line block ×3, first 2 shown]
	v_add_f64 v[176:177], v[78:79], v[86:87]
	v_add_f64 v[178:179], v[166:167], v[76:77]
	v_add_f64 v[184:185], v[82:83], -v[78:79]
	v_add_f64 v[86:87], v[86:87], -v[82:83]
	;; [unrolled: 1-line block ×3, first 2 shown]
	v_add_f64 v[164:165], v[164:165], v[170:171]
	v_add_f64 v[76:77], v[152:153], v[80:81]
	v_mul_f64 v[152:153], v[156:157], s[16:17]
	v_mul_f64 v[156:157], v[160:161], s[6:7]
	;; [unrolled: 1-line block ×4, first 2 shown]
	v_add_f64 v[166:167], v[84:85], -v[166:167]
	v_add_f64 v[82:83], v[176:177], v[82:83]
	v_add_f64 v[84:85], v[178:179], v[84:85]
	v_mul_f64 v[176:177], v[86:87], s[4:5]
	v_fma_f64 v[80:81], v[80:81], s[26:27], v[76:77]
	v_fma_f64 v[160:161], v[160:161], s[6:7], v[152:153]
	v_fma_f64 v[156:157], v[172:173], s[14:15], -v[156:157]
	v_fma_f64 v[152:153], v[172:173], s[18:19], -v[152:153]
	v_fma_f64 v[172:173], v[184:185], s[28:29], v[168:169]
	v_fma_f64 v[86:87], v[86:87], s[4:5], -v[168:169]
	v_fma_f64 v[168:169], v[186:187], s[4:5], -v[170:171]
	v_add_f64 v[78:79], v[154:155], v[164:165]
	v_mul_f64 v[154:155], v[158:159], s[16:17]
	v_mul_f64 v[158:159], v[162:163], s[6:7]
	v_add_f64 v[156:157], v[156:157], v[80:81]
	v_mul_f64 v[178:179], v[186:187], s[4:5]
	v_fma_f64 v[172:173], v[82:83], s[22:23], v[172:173]
	v_fma_f64 v[168:169], v[84:85], s[22:23], v[168:169]
	;; [unrolled: 1-line block ×4, first 2 shown]
	v_fma_f64 v[158:159], v[174:175], s[14:15], -v[158:159]
	v_fma_f64 v[154:155], v[174:175], s[18:19], -v[154:155]
	v_fma_f64 v[174:175], v[166:167], s[28:29], v[170:171]
	v_fma_f64 v[170:171], v[184:185], s[24:25], -v[176:177]
	v_add_f64 v[176:177], v[160:161], v[80:81]
	v_add_f64 v[160:161], v[152:153], v[80:81]
	v_add_f64 v[152:153], v[156:157], -v[168:169]
	v_add_f64 v[156:157], v[168:169], v[156:157]
	buffer_load_dword v168, off, s[40:43], 0 offset:1316 ; 4-byte Folded Reload
	s_waitcnt vmcnt(0)
	ds_write_b128 v168, v[16:19]
	ds_write_b128 v168, v[20:23] offset:720
	ds_write_b128 v168, v[24:27] offset:1440
	;; [unrolled: 1-line block ×6, first 2 shown]
	buffer_load_dword v16, off, s[40:43], 0 offset:1320 ; 4-byte Folded Reload
	s_waitcnt vmcnt(0)
	ds_write_b128 v16, v[48:51]
	ds_write_b128 v16, v[52:55] offset:720
	ds_write_b128 v16, v[56:59] offset:1440
	;; [unrolled: 1-line block ×6, first 2 shown]
	buffer_load_dword v16, off, s[40:43], 0 offset:1324 ; 4-byte Folded Reload
	v_fma_f64 v[166:167], v[166:167], s[24:25], -v[178:179]
	v_add_f64 v[178:179], v[162:163], v[164:165]
	v_add_f64 v[158:159], v[158:159], v[164:165]
	;; [unrolled: 1-line block ×3, first 2 shown]
	v_fma_f64 v[164:165], v[84:85], s[22:23], v[174:175]
	v_fma_f64 v[170:171], v[82:83], s[22:23], v[170:171]
	;; [unrolled: 1-line block ×4, first 2 shown]
	v_add_f64 v[82:83], v[178:179], -v[172:173]
	v_add_f64 v[80:81], v[164:165], v[176:177]
	v_add_f64 v[86:87], v[162:163], -v[170:171]
	v_add_f64 v[154:155], v[174:175], v[158:159]
	;; [unrolled: 2-line block ×5, first 2 shown]
	s_waitcnt vmcnt(0)
	ds_write_b128 v16, v[76:79]
	ds_write_b128 v16, v[80:83] offset:720
	ds_write_b128 v16, v[84:87] offset:1440
	;; [unrolled: 1-line block ×6, first 2 shown]
	s_and_saveexec_b64 s[30:31], s[2:3]
	s_cbranch_execz .LBB0_29
; %bb.28:
	buffer_load_dword v54, off, s[40:43], 0 offset:1384 ; 4-byte Folded Reload
	buffer_load_dword v55, off, s[40:43], 0 offset:1388 ; 4-byte Folded Reload
	;; [unrolled: 1-line block ×28, first 2 shown]
	s_waitcnt vmcnt(24)
	v_mul_f64 v[30:31], v[56:57], v[8:9]
	s_waitcnt vmcnt(18)
	v_mul_f64 v[28:29], v[60:61], v[66:67]
	;; [unrolled: 2-line block ×6, first 2 shown]
	v_mul_f64 v[32:33], v[64:65], v[148:149]
	v_mul_f64 v[34:35], v[52:53], v[12:13]
	;; [unrolled: 1-line block ×4, first 2 shown]
	v_fma_f64 v[20:21], v[42:43], v[144:145], v[20:21]
	v_fma_f64 v[22:23], v[46:47], v[4:5], v[22:23]
	v_fma_f64 v[12:13], v[50:51], v[12:13], v[24:25]
	v_fma_f64 v[24:25], v[62:63], v[148:149], v[26:27]
	v_fma_f64 v[26:27], v[58:59], v[68:69], -v[28:29]
	v_fma_f64 v[10:11], v[54:55], v[10:11], -v[30:31]
	;; [unrolled: 1-line block ×4, first 2 shown]
	v_mul_f64 v[4:5], v[48:49], v[4:5]
	v_mul_f64 v[30:31], v[44:45], v[144:145]
	v_fma_f64 v[8:9], v[54:55], v[8:9], v[16:17]
	v_fma_f64 v[16:17], v[58:59], v[66:67], v[18:19]
	v_add_f64 v[18:19], v[20:21], -v[22:23]
	v_add_f64 v[32:33], v[12:13], -v[24:25]
	v_add_f64 v[34:35], v[10:11], v[26:27]
	v_add_f64 v[40:41], v[14:15], v[28:29]
	v_fma_f64 v[4:5], v[46:47], v[6:7], -v[4:5]
	v_fma_f64 v[6:7], v[42:43], v[146:147], -v[30:31]
	v_add_f64 v[12:13], v[12:13], v[24:25]
	v_add_f64 v[30:31], v[8:9], -v[16:17]
	v_add_f64 v[8:9], v[8:9], v[16:17]
	v_add_f64 v[42:43], v[18:19], -v[32:33]
	v_add_f64 v[48:49], v[18:19], v[32:33]
	v_add_f64 v[44:45], v[40:41], v[34:35]
	;; [unrolled: 1-line block ×4, first 2 shown]
	v_add_f64 v[4:5], v[6:7], -v[4:5]
	v_add_f64 v[16:17], v[30:31], -v[18:19]
	;; [unrolled: 1-line block ×3, first 2 shown]
	v_mul_f64 v[18:19], v[42:43], s[20:21]
	v_add_f64 v[42:43], v[48:49], v[30:31]
	v_add_f64 v[10:11], v[10:11], -v[26:27]
	v_add_f64 v[30:31], v[32:33], -v[30:31]
	v_add_f64 v[24:25], v[46:47], v[44:45]
	v_add_f64 v[14:15], v[34:35], -v[46:47]
	v_add_f64 v[28:29], v[46:47], -v[40:41]
	v_add_f64 v[44:45], v[12:13], v[8:9]
	v_fma_f64 v[22:23], v[16:17], s[28:29], v[18:19]
	v_add_f64 v[26:27], v[4:5], -v[6:7]
	v_add_f64 v[34:35], v[40:41], -v[34:35]
	;; [unrolled: 1-line block ×3, first 2 shown]
	v_add_f64 v[2:3], v[2:3], v[24:25]
	v_mul_f64 v[14:15], v[14:15], s[16:17]
	v_mul_f64 v[48:49], v[28:29], s[6:7]
	v_add_f64 v[44:45], v[20:21], v[44:45]
	v_fma_f64 v[46:47], v[42:43], s[22:23], v[22:23]
	v_add_f64 v[22:23], v[8:9], -v[20:21]
	v_add_f64 v[20:21], v[20:21], -v[12:13]
	v_mul_f64 v[26:27], v[26:27], s[20:21]
	v_fma_f64 v[24:25], v[24:25], s[26:27], v[2:3]
	v_fma_f64 v[28:29], v[28:29], s[6:7], v[14:15]
	v_add_f64 v[4:5], v[4:5], v[6:7]
	v_add_f64 v[6:7], v[6:7], -v[10:11]
	v_fma_f64 v[14:15], v[34:35], s[18:19], -v[14:15]
	v_mul_f64 v[22:23], v[22:23], s[16:17]
	v_add_f64 v[8:9], v[12:13], -v[8:9]
	v_mul_f64 v[50:51], v[30:31], s[4:5]
	v_fma_f64 v[52:53], v[32:33], s[28:29], v[26:27]
	v_add_f64 v[28:29], v[28:29], v[24:25]
	v_fma_f64 v[18:19], v[30:31], s[4:5], -v[18:19]
	v_mul_f64 v[12:13], v[6:7], s[4:5]
	v_add_f64 v[30:31], v[14:15], v[24:25]
	v_fma_f64 v[40:41], v[20:21], s[6:7], v[22:23]
	v_fma_f64 v[14:15], v[8:9], s[18:19], -v[22:23]
	v_fma_f64 v[22:23], v[6:7], s[4:5], -v[26:27]
	v_add_f64 v[0:1], v[0:1], v[44:45]
	v_add_f64 v[6:7], v[46:47], v[28:29]
	v_add_f64 v[26:27], v[28:29], -v[46:47]
	buffer_load_dword v29, off, s[40:43], 0 offset:1332 ; 4-byte Folded Reload
	v_add_f64 v[10:11], v[4:5], v[10:11]
	v_mul_f64 v[4:5], v[20:21], s[6:7]
	v_fma_f64 v[34:35], v[34:35], s[14:15], -v[48:49]
	v_fma_f64 v[16:17], v[16:17], s[24:25], -v[50:51]
	v_fma_f64 v[44:45], v[44:45], s[26:27], v[0:1]
	v_fma_f64 v[12:13], v[32:33], s[24:25], -v[12:13]
	v_fma_f64 v[18:19], v[42:43], s[22:23], v[18:19]
	v_mov_b32_e32 v28, 4
	v_fma_f64 v[8:9], v[8:9], s[14:15], -v[4:5]
	v_add_f64 v[24:25], v[34:35], v[24:25]
	v_fma_f64 v[16:17], v[42:43], s[22:23], v[16:17]
	v_add_f64 v[20:21], v[40:41], v[44:45]
	v_fma_f64 v[40:41], v[10:11], s[22:23], v[52:53]
	v_add_f64 v[32:33], v[14:15], v[44:45]
	v_fma_f64 v[34:35], v[10:11], s[22:23], v[12:13]
	v_fma_f64 v[12:13], v[10:11], s[22:23], v[22:23]
	v_add_f64 v[8:9], v[8:9], v[44:45]
	v_add_f64 v[14:15], v[24:25], -v[18:19]
	v_add_f64 v[18:19], v[18:19], v[24:25]
	v_add_f64 v[22:23], v[30:31], -v[16:17]
	;; [unrolled: 2-line block ×3, first 2 shown]
	v_add_f64 v[20:21], v[34:35], v[32:33]
	v_add_f64 v[10:11], v[16:17], v[30:31]
	v_add_f64 v[16:17], v[8:9], -v[12:13]
	v_add_f64 v[12:13], v[12:13], v[8:9]
	v_add_f64 v[8:9], v[32:33], -v[34:35]
	s_waitcnt vmcnt(0)
	v_lshlrev_b32_sdwa v28, v28, v29 dst_sel:DWORD dst_unused:UNUSED_PAD src0_sel:DWORD src1_sel:BYTE_0
	ds_write_b128 v28, v[0:3] offset:20160
	ds_write_b128 v28, v[24:27] offset:20880
	;; [unrolled: 1-line block ×7, first 2 shown]
.LBB0_29:
	s_or_b64 exec, exec, s[30:31]
	buffer_load_dword v152, off, s[40:43], 0 offset:24 ; 4-byte Folded Reload
	buffer_load_dword v153, off, s[40:43], 0 offset:28 ; 4-byte Folded Reload
	s_waitcnt lgkmcnt(0)
	; wave barrier
	s_waitcnt lgkmcnt(0)
	ds_read_b128 v[4:7], v212 offset:5040
	ds_read_b128 v[8:11], v212 offset:15120
	ds_read_b128 v[16:19], v212
	ds_read_b128 v[12:15], v212 offset:1008
	ds_read_b128 v[20:23], v212 offset:10080
	;; [unrolled: 1-line block ×6, first 2 shown]
	s_waitcnt lgkmcnt(8)
	v_mul_f64 v[34:35], v[38:39], v[6:7]
	v_mul_f64 v[38:39], v[38:39], v[4:5]
	s_waitcnt lgkmcnt(4)
	v_mul_f64 v[64:65], v[218:219], v[22:23]
	v_mul_f64 v[66:67], v[218:219], v[20:21]
	ds_read_b128 v[44:47], v212 offset:6048
	ds_read_b128 v[48:51], v212 offset:7056
	;; [unrolled: 1-line block ×5, first 2 shown]
	s_mov_b32 s4, 0x4755a5e
	s_mov_b32 s5, 0xbfe2cf23
	v_fma_f64 v[72:73], v[36:37], v[4:5], v[34:35]
	v_mul_f64 v[34:35], v[94:95], v[10:11]
	v_fma_f64 v[74:75], v[36:37], v[6:7], -v[38:39]
	v_mul_f64 v[36:37], v[94:95], v[8:9]
	v_fma_f64 v[76:77], v[216:217], v[20:21], v[64:65]
	v_fma_f64 v[78:79], v[216:217], v[22:23], -v[66:67]
	s_waitcnt lgkmcnt(7)
	v_mul_f64 v[20:21], v[90:91], v[30:31]
	v_mul_f64 v[22:23], v[90:91], v[28:29]
	s_waitcnt lgkmcnt(6)
	v_mul_f64 v[38:39], v[222:223], v[42:43]
	v_fma_f64 v[80:81], v[92:93], v[8:9], v[34:35]
	s_waitcnt lgkmcnt(4)
	v_mul_f64 v[34:35], v[250:251], v[46:47]
	v_fma_f64 v[82:83], v[92:93], v[10:11], -v[36:37]
	v_mul_f64 v[36:37], v[250:251], v[44:45]
	ds_read_b128 v[64:67], v212 offset:2016
	ds_read_b128 v[4:7], v212 offset:3024
	v_fma_f64 v[84:85], v[88:89], v[28:29], v[20:21]
	v_fma_f64 v[86:87], v[88:89], v[30:31], -v[22:23]
	v_mul_f64 v[28:29], v[254:255], v[26:27]
	v_mul_f64 v[30:31], v[254:255], v[24:25]
	v_fma_f64 v[88:89], v[248:249], v[44:45], v[34:35]
	s_waitcnt lgkmcnt(4)
	v_mul_f64 v[34:35], v[230:231], v[54:55]
	ds_read_b128 v[8:11], v212 offset:12096
	ds_read_b128 v[20:23], v212 offset:13104
	v_fma_f64 v[90:91], v[248:249], v[46:47], -v[36:37]
	v_mul_f64 v[36:37], v[230:231], v[52:53]
	v_mul_f64 v[46:47], v[106:107], v[50:51]
	v_fma_f64 v[92:93], v[252:253], v[24:25], v[28:29]
	v_fma_f64 v[94:95], v[252:253], v[26:27], -v[30:31]
	v_mul_f64 v[44:45], v[222:223], v[40:41]
	v_fma_f64 v[144:145], v[228:229], v[52:53], v[34:35]
	v_mul_f64 v[52:53], v[106:107], v[48:49]
	v_fma_f64 v[106:107], v[220:221], v[40:41], v[38:39]
	s_waitcnt lgkmcnt(1)
	v_mul_f64 v[38:39], v[110:111], v[8:9]
	ds_read_b128 v[24:27], v212 offset:22176
	ds_read_b128 v[28:31], v212 offset:23184
	v_fma_f64 v[146:147], v[228:229], v[54:55], -v[36:37]
	v_mul_f64 v[54:55], v[110:111], v[10:11]
	v_fma_f64 v[110:111], v[104:105], v[48:49], v[46:47]
	v_mul_f64 v[48:49], v[102:103], v[58:59]
	v_fma_f64 v[104:105], v[104:105], v[50:51], -v[52:53]
	v_mul_f64 v[50:51], v[102:103], v[56:57]
	v_fma_f64 v[102:103], v[108:109], v[10:11], -v[38:39]
	s_waitcnt lgkmcnt(1)
	v_mul_f64 v[38:39], v[98:99], v[26:27]
	v_mul_f64 v[52:53], v[98:99], v[24:25]
	v_fma_f64 v[148:149], v[220:221], v[42:43], -v[44:45]
	ds_read_b128 v[34:37], v212 offset:8064
	ds_read_b128 v[40:43], v212 offset:9072
	v_fma_f64 v[150:151], v[108:109], v[8:9], v[54:55]
	ds_read_b128 v[8:11], v212 offset:18144
	ds_read_b128 v[44:47], v212 offset:19152
	;; [unrolled: 1-line block ×3, first 2 shown]
	v_fma_f64 v[98:99], v[100:101], v[56:57], v[48:49]
	s_waitcnt lgkmcnt(4)
	v_mul_f64 v[48:49], v[118:119], v[36:37]
	v_fma_f64 v[108:109], v[96:97], v[24:25], v[38:39]
	v_fma_f64 v[96:97], v[96:97], v[26:27], -v[52:53]
	v_mul_f64 v[24:25], v[118:119], v[34:35]
	v_mul_f64 v[38:39], v[126:127], v[20:21]
	s_waitcnt lgkmcnt(2)
	v_mul_f64 v[52:53], v[122:123], v[10:11]
	v_mul_f64 v[54:55], v[122:123], v[8:9]
	v_fma_f64 v[100:101], v[100:101], v[58:59], -v[50:51]
	v_mul_f64 v[26:27], v[126:127], v[22:23]
	v_fma_f64 v[118:119], v[116:117], v[34:35], v[48:49]
	v_mul_f64 v[34:35], v[114:115], v[30:31]
	v_fma_f64 v[48:49], v[116:117], v[36:37], -v[24:25]
	v_fma_f64 v[50:51], v[124:125], v[22:23], -v[38:39]
	v_fma_f64 v[116:117], v[120:121], v[8:9], v[52:53]
	v_fma_f64 v[52:53], v[120:121], v[10:11], -v[54:55]
	v_mul_f64 v[8:9], v[138:139], v[42:43]
	v_mul_f64 v[10:11], v[138:139], v[40:41]
	v_add_f64 v[22:23], v[16:17], v[72:73]
	v_mul_f64 v[56:57], v[114:115], v[28:29]
	v_fma_f64 v[114:115], v[124:125], v[20:21], v[26:27]
	v_mul_f64 v[20:21], v[142:143], v[62:63]
	v_add_f64 v[26:27], v[76:77], v[80:81]
	v_fma_f64 v[120:121], v[112:113], v[28:29], v[34:35]
	v_fma_f64 v[40:41], v[136:137], v[40:41], v[8:9]
	s_waitcnt lgkmcnt(1)
	v_mul_f64 v[8:9], v[134:135], v[46:47]
	v_fma_f64 v[36:37], v[136:137], v[42:43], -v[10:11]
	v_add_f64 v[10:11], v[22:23], v[76:77]
	v_fma_f64 v[54:55], v[112:113], v[30:31], -v[56:57]
	v_mul_f64 v[24:25], v[142:143], v[60:61]
	v_mul_f64 v[28:29], v[134:135], v[44:45]
	v_fma_f64 v[42:43], v[140:141], v[60:61], v[20:21]
	v_fma_f64 v[20:21], v[26:27], -0.5, v[16:17]
	v_add_f64 v[22:23], v[74:75], -v[86:87]
	v_fma_f64 v[44:45], v[132:133], v[44:45], v[8:9]
	s_waitcnt lgkmcnt(0)
	v_mul_f64 v[8:9], v[130:131], v[70:71]
	v_add_f64 v[10:11], v[10:11], v[80:81]
	v_add_f64 v[30:31], v[72:73], v[84:85]
	s_waitcnt vmcnt(1)
	v_mad_u64_u32 v[32:33], s[2:3], s10, v152, 0
	s_mov_b32 s2, 0x134454ff
	s_mov_b32 s3, 0xbfee6f0e
	v_fma_f64 v[38:39], v[140:141], v[62:63], -v[24:25]
	v_fma_f64 v[34:35], v[132:133], v[46:47], -v[28:29]
	v_mul_f64 v[24:25], v[130:131], v[68:69]
	v_fma_f64 v[26:27], v[22:23], s[2:3], v[20:21]
	v_add_f64 v[28:29], v[78:79], -v[82:83]
	v_add_f64 v[58:59], v[72:73], -v[76:77]
	;; [unrolled: 1-line block ×3, first 2 shown]
	v_fma_f64 v[56:57], v[128:129], v[68:69], v[8:9]
	v_add_f64 v[8:9], v[10:11], v[84:85]
	v_fma_f64 v[10:11], v[30:31], -0.5, v[16:17]
	s_mov_b32 s7, 0x3fee6f0e
	s_mov_b32 s6, s2
	v_fma_f64 v[46:47], v[128:129], v[70:71], -v[24:25]
	v_fma_f64 v[16:17], v[28:29], s[4:5], v[26:27]
	v_add_f64 v[24:25], v[58:59], v[60:61]
	v_add_f64 v[26:27], v[78:79], v[82:83]
	v_fma_f64 v[20:21], v[22:23], s[6:7], v[20:21]
	v_fma_f64 v[30:31], v[28:29], s[6:7], v[10:11]
	v_add_f64 v[58:59], v[76:77], -v[72:73]
	v_add_f64 v[60:61], v[80:81], -v[84:85]
	v_fma_f64 v[10:11], v[28:29], s[2:3], v[10:11]
	s_mov_b32 s15, 0x3fe2cf23
	s_mov_b32 s14, s4
	v_add_f64 v[62:63], v[18:19], v[74:75]
	v_fma_f64 v[26:27], v[26:27], -0.5, v[18:19]
	v_add_f64 v[68:69], v[72:73], -v[84:85]
	v_fma_f64 v[20:21], v[28:29], s[14:15], v[20:21]
	v_fma_f64 v[30:31], v[22:23], s[4:5], v[30:31]
	v_add_f64 v[58:59], v[58:59], v[60:61]
	v_fma_f64 v[10:11], v[22:23], s[14:15], v[10:11]
	v_add_f64 v[60:61], v[74:75], v[86:87]
	s_mov_b32 s16, 0x372fe950
	s_mov_b32 s17, 0x3fd3c6ef
	v_add_f64 v[22:23], v[62:63], v[78:79]
	v_fma_f64 v[62:63], v[68:69], s[6:7], v[26:27]
	v_add_f64 v[70:71], v[76:77], -v[80:81]
	v_fma_f64 v[28:29], v[24:25], s[16:17], v[16:17]
	v_fma_f64 v[16:17], v[24:25], s[16:17], v[20:21]
	;; [unrolled: 1-line block ×3, first 2 shown]
	v_fma_f64 v[18:19], v[60:61], -0.5, v[18:19]
	v_fma_f64 v[20:21], v[58:59], s[16:17], v[10:11]
	v_add_f64 v[30:31], v[74:75], -v[78:79]
	v_add_f64 v[58:59], v[92:93], v[144:145]
	v_fma_f64 v[26:27], v[68:69], s[2:3], v[26:27]
	v_add_f64 v[72:73], v[78:79], -v[74:75]
	v_add_f64 v[74:75], v[82:83], -v[86:87]
	v_add_f64 v[10:11], v[22:23], v[82:83]
	v_fma_f64 v[22:23], v[70:71], s[14:15], v[62:63]
	v_add_f64 v[60:61], v[86:87], -v[82:83]
	v_fma_f64 v[62:63], v[70:71], s[2:3], v[18:19]
	v_fma_f64 v[18:19], v[70:71], s[6:7], v[18:19]
	v_add_f64 v[76:77], v[12:13], v[88:89]
	v_fma_f64 v[58:59], v[58:59], -0.5, v[12:13]
	v_add_f64 v[78:79], v[90:91], -v[148:149]
	v_fma_f64 v[26:27], v[70:71], s[4:5], v[26:27]
	v_add_f64 v[70:71], v[72:73], v[74:75]
	v_add_f64 v[72:73], v[88:89], v[106:107]
	;; [unrolled: 1-line block ×3, first 2 shown]
	v_fma_f64 v[62:63], v[68:69], s[14:15], v[62:63]
	v_fma_f64 v[68:69], v[68:69], s[4:5], v[18:19]
	v_add_f64 v[74:75], v[76:77], v[92:93]
	v_fma_f64 v[76:77], v[78:79], s[2:3], v[58:59]
	v_add_f64 v[80:81], v[94:95], -v[146:147]
	v_fma_f64 v[58:59], v[78:79], s[6:7], v[58:59]
	v_fma_f64 v[12:13], v[72:73], -0.5, v[12:13]
	v_fma_f64 v[30:31], v[60:61], s[16:17], v[22:23]
	v_fma_f64 v[18:19], v[60:61], s[16:17], v[26:27]
	;; [unrolled: 1-line block ×4, first 2 shown]
	v_add_f64 v[60:61], v[74:75], v[144:145]
	v_fma_f64 v[62:63], v[80:81], s[4:5], v[76:77]
	v_add_f64 v[68:69], v[88:89], -v[92:93]
	v_add_f64 v[70:71], v[94:95], v[146:147]
	v_add_f64 v[72:73], v[106:107], -v[144:145]
	v_fma_f64 v[74:75], v[80:81], s[6:7], v[12:13]
	v_add_f64 v[76:77], v[92:93], -v[88:89]
	v_add_f64 v[82:83], v[144:145], -v[106:107]
	v_fma_f64 v[12:13], v[80:81], s[2:3], v[12:13]
	v_add_f64 v[10:11], v[10:11], v[86:87]
	v_add_f64 v[84:85], v[14:15], v[90:91]
	v_fma_f64 v[70:71], v[70:71], -0.5, v[14:15]
	v_add_f64 v[86:87], v[88:89], -v[106:107]
	v_add_f64 v[68:69], v[68:69], v[72:73]
	v_fma_f64 v[72:73], v[80:81], s[14:15], v[58:59]
	v_fma_f64 v[74:75], v[78:79], s[4:5], v[74:75]
	v_add_f64 v[76:77], v[76:77], v[82:83]
	v_fma_f64 v[78:79], v[78:79], s[14:15], v[12:13]
	v_add_f64 v[80:81], v[90:91], v[148:149]
	v_add_f64 v[82:83], v[84:85], v[94:95]
	v_fma_f64 v[84:85], v[86:87], s[6:7], v[70:71]
	v_add_f64 v[88:89], v[92:93], -v[144:145]
	v_fma_f64 v[58:59], v[68:69], s[16:17], v[62:63]
	v_fma_f64 v[68:69], v[68:69], s[16:17], v[72:73]
	;; [unrolled: 1-line block ×4, first 2 shown]
	v_fma_f64 v[14:15], v[80:81], -0.5, v[14:15]
	v_add_f64 v[78:79], v[150:151], v[98:99]
	v_add_f64 v[12:13], v[60:61], v[106:107]
	;; [unrolled: 1-line block ×3, first 2 shown]
	v_fma_f64 v[62:63], v[88:89], s[14:15], v[84:85]
	v_add_f64 v[74:75], v[90:91], -v[94:95]
	v_add_f64 v[80:81], v[148:149], -v[146:147]
	v_fma_f64 v[70:71], v[86:87], s[2:3], v[70:71]
	v_fma_f64 v[82:83], v[88:89], s[2:3], v[14:15]
	v_add_f64 v[84:85], v[94:95], -v[90:91]
	v_add_f64 v[90:91], v[146:147], -v[148:149]
	v_fma_f64 v[14:15], v[88:89], s[6:7], v[14:15]
	v_add_f64 v[92:93], v[64:65], v[110:111]
	v_fma_f64 v[94:95], v[78:79], -0.5, v[64:65]
	v_add_f64 v[106:107], v[104:105], -v[96:97]
	v_add_f64 v[74:75], v[74:75], v[80:81]
	v_fma_f64 v[70:71], v[88:89], s[4:5], v[70:71]
	v_fma_f64 v[78:79], v[86:87], s[14:15], v[82:83]
	v_add_f64 v[80:81], v[84:85], v[90:91]
	v_fma_f64 v[82:83], v[86:87], s[4:5], v[14:15]
	v_add_f64 v[84:85], v[92:93], v[150:151]
	v_add_f64 v[86:87], v[110:111], v[108:109]
	v_fma_f64 v[88:89], v[106:107], s[2:3], v[94:95]
	v_add_f64 v[90:91], v[102:103], -v[100:101]
	v_add_f64 v[14:15], v[60:61], v[148:149]
	v_fma_f64 v[60:61], v[74:75], s[16:17], v[62:63]
	v_fma_f64 v[70:71], v[74:75], s[16:17], v[70:71]
	;; [unrolled: 1-line block ×4, first 2 shown]
	v_fma_f64 v[62:63], v[86:87], -0.5, v[64:65]
	v_add_f64 v[64:65], v[84:85], v[98:99]
	v_fma_f64 v[80:81], v[90:91], s[4:5], v[88:89]
	v_add_f64 v[82:83], v[110:111], -v[150:151]
	v_add_f64 v[84:85], v[66:67], v[104:105]
	v_add_f64 v[88:89], v[108:109], -v[98:99]
	v_fma_f64 v[92:93], v[106:107], s[6:7], v[94:95]
	v_add_f64 v[112:113], v[150:151], -v[110:111]
	v_add_f64 v[122:123], v[98:99], -v[108:109]
	v_add_f64 v[86:87], v[102:103], v[100:101]
	v_fma_f64 v[94:95], v[90:91], s[6:7], v[62:63]
	v_fma_f64 v[62:63], v[90:91], s[2:3], v[62:63]
	v_add_f64 v[84:85], v[84:85], v[102:103]
	v_add_f64 v[82:83], v[82:83], v[88:89]
	v_fma_f64 v[88:89], v[90:91], s[14:15], v[92:93]
	v_add_f64 v[110:111], v[110:111], -v[108:109]
	v_add_f64 v[92:93], v[112:113], v[122:123]
	v_add_f64 v[112:113], v[104:105], v[96:97]
	v_fma_f64 v[86:87], v[86:87], -0.5, v[66:67]
	v_fma_f64 v[90:91], v[106:107], s[4:5], v[94:95]
	v_fma_f64 v[94:95], v[106:107], s[14:15], v[62:63]
	v_add_f64 v[106:107], v[84:85], v[100:101]
	v_add_f64 v[98:99], v[150:151], -v[98:99]
	v_add_f64 v[62:63], v[64:65], v[108:109]
	v_fma_f64 v[84:85], v[82:83], s[16:17], v[88:89]
	v_fma_f64 v[66:67], v[112:113], -0.5, v[66:67]
	v_fma_f64 v[122:123], v[110:111], s[6:7], v[86:87]
	v_fma_f64 v[88:89], v[92:93], s[16:17], v[90:91]
	;; [unrolled: 1-line block ×3, first 2 shown]
	v_add_f64 v[64:65], v[106:107], v[96:97]
	v_add_f64 v[90:91], v[104:105], -v[102:103]
	v_add_f64 v[94:95], v[96:97], -v[100:101]
	v_add_f64 v[106:107], v[4:5], v[118:119]
	v_fma_f64 v[86:87], v[110:111], s[2:3], v[86:87]
	v_add_f64 v[108:109], v[114:115], v[116:117]
	v_fma_f64 v[112:113], v[98:99], s[2:3], v[66:67]
	v_add_f64 v[102:103], v[102:103], -v[104:105]
	v_add_f64 v[96:97], v[100:101], -v[96:97]
	v_fma_f64 v[66:67], v[98:99], s[6:7], v[66:67]
	v_fma_f64 v[80:81], v[82:83], s[16:17], v[80:81]
	;; [unrolled: 1-line block ×3, first 2 shown]
	v_add_f64 v[90:91], v[90:91], v[94:95]
	v_add_f64 v[94:95], v[106:107], v[114:115]
	v_fma_f64 v[86:87], v[98:99], s[4:5], v[86:87]
	v_fma_f64 v[98:99], v[108:109], -0.5, v[4:5]
	v_add_f64 v[104:105], v[48:49], -v[54:55]
	v_fma_f64 v[100:101], v[110:111], s[14:15], v[112:113]
	v_add_f64 v[96:97], v[102:103], v[96:97]
	v_fma_f64 v[66:67], v[110:111], s[4:5], v[66:67]
	v_add_f64 v[102:103], v[118:119], v[120:121]
	v_add_f64 v[106:107], v[94:95], v[116:117]
	v_fma_f64 v[82:83], v[90:91], s[16:17], v[82:83]
	v_fma_f64 v[86:87], v[90:91], s[16:17], v[86:87]
	;; [unrolled: 1-line block ×3, first 2 shown]
	v_add_f64 v[110:111], v[50:51], -v[52:53]
	v_fma_f64 v[90:91], v[96:97], s[16:17], v[100:101]
	v_fma_f64 v[94:95], v[96:97], s[16:17], v[66:67]
	v_fma_f64 v[66:67], v[102:103], -0.5, v[4:5]
	v_add_f64 v[96:97], v[118:119], -v[114:115]
	v_add_f64 v[100:101], v[120:121], -v[116:117]
	v_fma_f64 v[98:99], v[104:105], s[6:7], v[98:99]
	v_add_f64 v[122:123], v[114:115], -v[118:119]
	v_fma_f64 v[102:103], v[110:111], s[4:5], v[108:109]
	v_add_f64 v[108:109], v[50:51], v[52:53]
	v_add_f64 v[124:125], v[116:117], -v[120:121]
	v_fma_f64 v[112:113], v[110:111], s[6:7], v[66:67]
	v_fma_f64 v[66:67], v[110:111], s[2:3], v[66:67]
	v_add_f64 v[100:101], v[96:97], v[100:101]
	v_add_f64 v[4:5], v[106:107], v[120:121]
	;; [unrolled: 1-line block ×3, first 2 shown]
	v_fma_f64 v[98:99], v[110:111], s[14:15], v[98:99]
	v_fma_f64 v[110:111], v[108:109], -0.5, v[6:7]
	v_add_f64 v[118:119], v[118:119], -v[120:121]
	v_fma_f64 v[108:109], v[104:105], s[4:5], v[112:113]
	v_add_f64 v[112:113], v[122:123], v[124:125]
	v_fma_f64 v[96:97], v[100:101], s[16:17], v[102:103]
	v_fma_f64 v[66:67], v[104:105], s[14:15], v[66:67]
	v_add_f64 v[102:103], v[48:49], v[54:55]
	v_add_f64 v[106:107], v[106:107], v[50:51]
	v_add_f64 v[114:115], v[114:115], -v[116:117]
	v_add_f64 v[116:117], v[42:43], v[44:45]
	v_fma_f64 v[100:101], v[100:101], s[16:17], v[98:99]
	v_fma_f64 v[104:105], v[112:113], s[16:17], v[108:109]
	v_add_f64 v[120:121], v[48:49], -v[50:51]
	v_fma_f64 v[108:109], v[112:113], s[16:17], v[66:67]
	v_fma_f64 v[66:67], v[102:103], -0.5, v[6:7]
	v_add_f64 v[98:99], v[106:107], v[52:53]
	v_fma_f64 v[106:107], v[118:119], s[6:7], v[110:111]
	v_add_f64 v[122:123], v[54:55], -v[52:53]
	v_add_f64 v[102:103], v[0:1], v[40:41]
	v_fma_f64 v[112:113], v[116:117], -0.5, v[0:1]
	v_add_f64 v[116:117], v[36:37], -v[46:47]
	v_fma_f64 v[110:111], v[118:119], s[2:3], v[110:111]
	v_add_f64 v[48:49], v[50:51], -v[48:49]
	v_add_f64 v[50:51], v[52:53], -v[54:55]
	v_fma_f64 v[52:53], v[114:115], s[6:7], v[66:67]
	v_add_f64 v[6:7], v[98:99], v[54:55]
	v_fma_f64 v[98:99], v[114:115], s[14:15], v[106:107]
	v_add_f64 v[106:107], v[120:121], v[122:123]
	;; [unrolled: 2-line block ×3, first 2 shown]
	v_fma_f64 v[66:67], v[116:117], s[2:3], v[112:113]
	v_add_f64 v[122:123], v[38:39], -v[34:35]
	v_add_f64 v[102:103], v[40:41], -v[42:43]
	;; [unrolled: 1-line block ×3, first 2 shown]
	v_fma_f64 v[110:111], v[114:115], s[4:5], v[110:111]
	v_add_f64 v[48:49], v[48:49], v[50:51]
	v_fma_f64 v[50:51], v[118:119], s[4:5], v[52:53]
	v_add_f64 v[114:115], v[40:41], v[56:57]
	;; [unrolled: 2-line block ×6, first 2 shown]
	v_fma_f64 v[98:99], v[106:107], s[16:17], v[98:99]
	v_fma_f64 v[114:115], v[114:115], -0.5, v[0:1]
	v_fma_f64 v[106:107], v[48:49], s[16:17], v[120:121]
	v_add_f64 v[0:1], v[52:53], v[56:57]
	v_fma_f64 v[52:53], v[116:117], s[6:7], v[112:113]
	v_add_f64 v[112:113], v[42:43], -v[40:41]
	v_add_f64 v[120:121], v[44:45], -v[56:57]
	v_add_f64 v[124:125], v[2:3], v[36:37]
	v_fma_f64 v[50:51], v[50:51], -0.5, v[2:3]
	v_add_f64 v[40:41], v[40:41], -v[56:57]
	v_add_f64 v[42:43], v[42:43], -v[44:45]
	v_fma_f64 v[2:3], v[118:119], -0.5, v[2:3]
	v_fma_f64 v[48:49], v[66:67], s[16:17], v[54:55]
	v_fma_f64 v[54:55], v[122:123], s[6:7], v[114:115]
	v_add_f64 v[44:45], v[112:113], v[120:121]
	v_add_f64 v[112:113], v[124:125], v[38:39]
	v_fma_f64 v[52:53], v[122:123], s[14:15], v[52:53]
	v_fma_f64 v[56:57], v[122:123], s[2:3], v[114:115]
	v_fma_f64 v[114:115], v[40:41], s[6:7], v[50:51]
	v_add_f64 v[118:119], v[36:37], -v[38:39]
	v_add_f64 v[120:121], v[46:47], -v[34:35]
	v_fma_f64 v[50:51], v[40:41], s[2:3], v[50:51]
	v_fma_f64 v[122:123], v[42:43], s[2:3], v[2:3]
	v_add_f64 v[36:37], v[38:39], -v[36:37]
	v_add_f64 v[38:39], v[34:35], -v[46:47]
	v_fma_f64 v[2:3], v[42:43], s[6:7], v[2:3]
	v_add_f64 v[112:113], v[112:113], v[34:35]
	v_fma_f64 v[54:55], v[116:117], s[4:5], v[54:55]
	v_fma_f64 v[56:57], v[116:117], s[14:15], v[56:57]
	;; [unrolled: 1-line block ×3, first 2 shown]
	v_add_f64 v[116:117], v[118:119], v[120:121]
	v_fma_f64 v[118:119], v[42:43], s[4:5], v[50:51]
	v_fma_f64 v[120:121], v[40:41], s[14:15], v[122:123]
	v_add_f64 v[122:123], v[36:37], v[38:39]
	v_fma_f64 v[124:125], v[40:41], s[4:5], v[2:3]
	v_add_f64 v[2:3], v[112:113], v[46:47]
	v_fma_f64 v[34:35], v[66:67], s[16:17], v[52:53]
	v_fma_f64 v[38:39], v[44:45], s[16:17], v[54:55]
	;; [unrolled: 1-line block ×7, first 2 shown]
	ds_write_b128 v212, v[8:11]
	ds_write_b128 v212, v[28:31] offset:5040
	ds_write_b128 v212, v[24:27] offset:10080
	;; [unrolled: 1-line block ×24, first 2 shown]
	s_waitcnt lgkmcnt(0)
	; wave barrier
	s_waitcnt lgkmcnt(0)
	ds_read_b128 v[0:3], v212
	ds_read_b128 v[4:7], v212 offset:1008
	buffer_load_dword v14, off, s[40:43], 0 offset:404 ; 4-byte Folded Reload
	buffer_load_dword v15, off, s[40:43], 0 offset:408 ; 4-byte Folded Reload
	;; [unrolled: 1-line block ×4, first 2 shown]
	v_mov_b32_e32 v8, v33
	v_mov_b32_e32 v24, s13
	s_mul_hi_u32 s7, s8, 0xfffffc25
	s_mul_i32 s6, s9, 0xfffffc25
	s_sub_i32 s7, s7, s8
	s_add_i32 s7, s7, s6
	s_mul_i32 s6, s8, 0xfffffc25
	s_lshl_b64 s[6:7], s[6:7], 4
	s_waitcnt vmcnt(0) lgkmcnt(1)
	v_mul_f64 v[9:10], v[16:17], v[2:3]
	v_mad_u64_u32 v[11:12], s[2:3], s11, v152, v[8:9]
	v_mul_f64 v[12:13], v[16:17], v[0:1]
	v_fma_f64 v[0:1], v[14:15], v[0:1], v[9:10]
	buffer_load_dword v9, off, s[40:43], 0 offset:32 ; 4-byte Folded Reload
	v_mov_b32_e32 v33, v11
	v_lshlrev_b64 v[18:19], 4, v[32:33]
	v_add_co_u32_e32 v25, vcc, s12, v18
	v_fma_f64 v[2:3], v[14:15], v[2:3], -v[12:13]
	v_addc_co_u32_e32 v26, vcc, v24, v19, vcc
	s_waitcnt vmcnt(0)
	v_mad_u64_u32 v[16:17], s[2:3], s8, v9, 0
	s_mov_b32 s2, 0xae67b348
	s_mov_b32 s3, 0x3f44ce19
	v_mov_b32_e32 v8, v17
	v_mad_u64_u32 v[12:13], s[4:5], s9, v9, v[8:9]
	ds_read_b128 v[8:11], v212 offset:8400
	v_mul_f64 v[0:1], v[0:1], s[2:3]
	v_mov_b32_e32 v17, v12
	ds_read_b128 v[12:15], v212 offset:9408
	buffer_load_dword v27, off, s[40:43], 0 offset:68 ; 4-byte Folded Reload
	buffer_load_dword v28, off, s[40:43], 0 offset:72 ; 4-byte Folded Reload
	;; [unrolled: 1-line block ×4, first 2 shown]
	v_mul_f64 v[2:3], v[2:3], s[2:3]
	v_lshlrev_b64 v[16:17], 4, v[16:17]
	s_mul_i32 s4, s9, 0x20d
	v_add_co_u32_e32 v24, vcc, v25, v16
	v_addc_co_u32_e32 v25, vcc, v26, v17, vcc
	s_mul_hi_u32 s5, s8, 0x20d
	global_store_dwordx4 v[24:25], v[0:3], off
	s_add_i32 s5, s5, s4
	s_mul_i32 s4, s8, 0x20d
	s_lshl_b64 s[4:5], s[4:5], 4
	v_mov_b32_e32 v1, s5
	v_add_co_u32_e32 v24, vcc, s4, v24
	v_addc_co_u32_e32 v25, vcc, v25, v1, vcc
	v_mov_b32_e32 v0, s7
	s_waitcnt vmcnt(1) lgkmcnt(1)
	v_mul_f64 v[20:21], v[29:30], v[10:11]
	v_mul_f64 v[22:23], v[29:30], v[8:9]
	v_fma_f64 v[18:19], v[27:28], v[8:9], v[20:21]
	v_fma_f64 v[20:21], v[27:28], v[10:11], -v[22:23]
	ds_read_b128 v[8:11], v212 offset:16800
	v_mul_f64 v[16:17], v[18:19], s[2:3]
	v_mul_f64 v[18:19], v[20:21], s[2:3]
	ds_read_b128 v[20:23], v212 offset:17808
	buffer_load_dword v28, off, s[40:43], 0 offset:116 ; 4-byte Folded Reload
	buffer_load_dword v29, off, s[40:43], 0 offset:120 ; 4-byte Folded Reload
	;; [unrolled: 1-line block ×4, first 2 shown]
	s_waitcnt vmcnt(0) lgkmcnt(1)
	v_mul_f64 v[2:3], v[30:31], v[10:11]
	v_mul_f64 v[26:27], v[30:31], v[8:9]
	buffer_load_dword v30, off, s[40:43], 0 offset:244 ; 4-byte Folded Reload
	buffer_load_dword v31, off, s[40:43], 0 offset:248 ; 4-byte Folded Reload
	buffer_load_dword v32, off, s[40:43], 0 offset:252 ; 4-byte Folded Reload
	buffer_load_dword v33, off, s[40:43], 0 offset:256 ; 4-byte Folded Reload
	v_fma_f64 v[2:3], v[28:29], v[8:9], v[2:3]
	v_fma_f64 v[10:11], v[28:29], v[10:11], -v[26:27]
	global_store_dwordx4 v[24:25], v[16:19], off
	v_mul_f64 v[8:9], v[2:3], s[2:3]
	v_mul_f64 v[10:11], v[10:11], s[2:3]
	s_waitcnt vmcnt(1)
	v_mul_f64 v[26:27], v[32:33], v[6:7]
	v_mul_f64 v[28:29], v[32:33], v[4:5]
	v_fma_f64 v[2:3], v[30:31], v[4:5], v[26:27]
	v_fma_f64 v[4:5], v[30:31], v[6:7], -v[28:29]
	v_add_co_u32_e32 v6, vcc, s4, v24
	v_addc_co_u32_e32 v7, vcc, v25, v1, vcc
	global_store_dwordx4 v[6:7], v[8:11], off
	buffer_load_dword v16, off, s[40:43], 0 offset:292 ; 4-byte Folded Reload
	buffer_load_dword v17, off, s[40:43], 0 offset:296 ; 4-byte Folded Reload
	;; [unrolled: 1-line block ×8, first 2 shown]
	v_mul_f64 v[2:3], v[2:3], s[2:3]
	v_mul_f64 v[4:5], v[4:5], s[2:3]
	s_waitcnt vmcnt(4)
	v_mul_f64 v[8:9], v[18:19], v[14:15]
	v_mul_f64 v[10:11], v[18:19], v[12:13]
	v_fma_f64 v[8:9], v[16:17], v[12:13], v[8:9]
	v_fma_f64 v[10:11], v[16:17], v[14:15], -v[10:11]
	s_waitcnt vmcnt(0) lgkmcnt(0)
	v_mul_f64 v[12:13], v[26:27], v[22:23]
	v_add_co_u32_e32 v16, vcc, s6, v6
	v_addc_co_u32_e32 v17, vcc, v7, v0, vcc
	global_store_dwordx4 v[16:17], v[2:5], off
	v_mul_f64 v[14:15], v[26:27], v[20:21]
	v_mul_f64 v[2:3], v[8:9], s[2:3]
	ds_read_b128 v[6:9], v212 offset:2016
	v_mul_f64 v[4:5], v[10:11], s[2:3]
	v_fma_f64 v[18:19], v[24:25], v[20:21], v[12:13]
	ds_read_b128 v[10:13], v212 offset:3024
	buffer_load_dword v28, off, s[40:43], 0 offset:84 ; 4-byte Folded Reload
	buffer_load_dword v29, off, s[40:43], 0 offset:88 ; 4-byte Folded Reload
	;; [unrolled: 1-line block ×4, first 2 shown]
	v_add_co_u32_e32 v26, vcc, s4, v16
	v_fma_f64 v[20:21], v[24:25], v[22:23], -v[14:15]
	v_addc_co_u32_e32 v27, vcc, v17, v1, vcc
	global_store_dwordx4 v[26:27], v[2:5], off
	ds_read_b128 v[14:17], v212 offset:10416
	v_mul_f64 v[2:3], v[18:19], s[2:3]
	v_add_co_u32_e32 v26, vcc, s4, v26
	v_mul_f64 v[4:5], v[20:21], s[2:3]
	v_addc_co_u32_e32 v27, vcc, v27, v1, vcc
	s_waitcnt vmcnt(1) lgkmcnt(2)
	v_mul_f64 v[22:23], v[30:31], v[8:9]
	v_mul_f64 v[24:25], v[30:31], v[6:7]
	v_fma_f64 v[18:19], v[28:29], v[6:7], v[22:23]
	v_fma_f64 v[22:23], v[28:29], v[8:9], -v[24:25]
	ds_read_b128 v[6:9], v212 offset:11424
	buffer_load_dword v30, off, s[40:43], 0 offset:36 ; 4-byte Folded Reload
	buffer_load_dword v31, off, s[40:43], 0 offset:40 ; 4-byte Folded Reload
	;; [unrolled: 1-line block ×4, first 2 shown]
	s_waitcnt vmcnt(0) lgkmcnt(1)
	v_mul_f64 v[24:25], v[32:33], v[16:17]
	v_mul_f64 v[28:29], v[32:33], v[14:15]
	global_store_dwordx4 v[26:27], v[2:5], off
	v_add_co_u32_e32 v26, vcc, s6, v26
	v_mul_f64 v[2:3], v[18:19], s[2:3]
	ds_read_b128 v[18:21], v212 offset:18816
	v_mul_f64 v[4:5], v[22:23], s[2:3]
	v_fma_f64 v[22:23], v[30:31], v[14:15], v[24:25]
	v_fma_f64 v[24:25], v[30:31], v[16:17], -v[28:29]
	ds_read_b128 v[14:17], v212 offset:19824
	buffer_load_dword v32, off, s[40:43], 0 offset:388 ; 4-byte Folded Reload
	buffer_load_dword v33, off, s[40:43], 0 offset:392 ; 4-byte Folded Reload
	;; [unrolled: 1-line block ×4, first 2 shown]
	v_addc_co_u32_e32 v27, vcc, v27, v0, vcc
	global_store_dwordx4 v[26:27], v[2:5], off
	s_nop 0
	v_mul_f64 v[2:3], v[22:23], s[2:3]
	v_mul_f64 v[4:5], v[24:25], s[2:3]
	v_add_co_u32_e32 v26, vcc, s4, v26
	v_addc_co_u32_e32 v27, vcc, v27, v1, vcc
	s_waitcnt vmcnt(1) lgkmcnt(1)
	v_mul_f64 v[28:29], v[34:35], v[20:21]
	v_mul_f64 v[30:31], v[34:35], v[18:19]
	v_fma_f64 v[18:19], v[32:33], v[18:19], v[28:29]
	v_fma_f64 v[20:21], v[32:33], v[20:21], -v[30:31]
	buffer_load_dword v28, off, s[40:43], 0 offset:212 ; 4-byte Folded Reload
	buffer_load_dword v29, off, s[40:43], 0 offset:216 ; 4-byte Folded Reload
	;; [unrolled: 1-line block ×4, first 2 shown]
	s_waitcnt vmcnt(0)
	v_mul_f64 v[22:23], v[30:31], v[12:13]
	v_mul_f64 v[24:25], v[30:31], v[10:11]
	global_store_dwordx4 v[26:27], v[2:5], off
	v_fma_f64 v[10:11], v[28:29], v[10:11], v[22:23]
	v_mul_f64 v[2:3], v[18:19], s[2:3]
	v_mul_f64 v[4:5], v[20:21], s[2:3]
	v_fma_f64 v[12:13], v[28:29], v[12:13], -v[24:25]
	buffer_load_dword v28, off, s[40:43], 0 offset:308 ; 4-byte Folded Reload
	buffer_load_dword v29, off, s[40:43], 0 offset:312 ; 4-byte Folded Reload
	;; [unrolled: 1-line block ×4, first 2 shown]
	v_add_co_u32_e32 v22, vcc, s4, v26
	v_addc_co_u32_e32 v23, vcc, v27, v1, vcc
	global_store_dwordx4 v[22:23], v[2:5], off
	buffer_load_dword v24, off, s[40:43], 0 offset:356 ; 4-byte Folded Reload
	buffer_load_dword v25, off, s[40:43], 0 offset:360 ; 4-byte Folded Reload
	;; [unrolled: 1-line block ×4, first 2 shown]
	v_mul_f64 v[2:3], v[10:11], s[2:3]
	v_mul_f64 v[4:5], v[12:13], s[2:3]
	s_waitcnt vmcnt(5)
	v_mul_f64 v[18:19], v[30:31], v[8:9]
	v_mul_f64 v[20:21], v[30:31], v[6:7]
	s_waitcnt vmcnt(0) lgkmcnt(0)
	v_mul_f64 v[12:13], v[26:27], v[16:17]
	v_fma_f64 v[6:7], v[28:29], v[6:7], v[18:19]
	v_fma_f64 v[10:11], v[28:29], v[8:9], -v[20:21]
	v_add_co_u32_e32 v20, vcc, s6, v22
	v_addc_co_u32_e32 v21, vcc, v23, v0, vcc
	global_store_dwordx4 v[20:21], v[2:5], off
	v_mul_f64 v[18:19], v[26:27], v[14:15]
	v_mul_f64 v[2:3], v[6:7], s[2:3]
	ds_read_b128 v[6:9], v212 offset:4032
	v_mul_f64 v[4:5], v[10:11], s[2:3]
	v_fma_f64 v[14:15], v[24:25], v[14:15], v[12:13]
	ds_read_b128 v[10:13], v212 offset:5040
	buffer_load_dword v26, off, s[40:43], 0 offset:148 ; 4-byte Folded Reload
	buffer_load_dword v27, off, s[40:43], 0 offset:152 ; 4-byte Folded Reload
	;; [unrolled: 1-line block ×4, first 2 shown]
	v_add_co_u32_e32 v20, vcc, s4, v20
	v_fma_f64 v[18:19], v[24:25], v[16:17], -v[18:19]
	v_addc_co_u32_e32 v21, vcc, v21, v1, vcc
	global_store_dwordx4 v[20:21], v[2:5], off
	s_waitcnt vmcnt(1) lgkmcnt(1)
	v_mul_f64 v[22:23], v[28:29], v[8:9]
	v_mul_f64 v[24:25], v[28:29], v[6:7]
	;; [unrolled: 1-line block ×3, first 2 shown]
	ds_read_b128 v[14:17], v212 offset:12432
	v_mul_f64 v[4:5], v[18:19], s[2:3]
	v_add_co_u32_e32 v28, vcc, s4, v20
	v_addc_co_u32_e32 v29, vcc, v21, v1, vcc
	v_fma_f64 v[18:19], v[26:27], v[6:7], v[22:23]
	v_fma_f64 v[22:23], v[26:27], v[8:9], -v[24:25]
	ds_read_b128 v[6:9], v212 offset:13440
	buffer_load_dword v30, off, s[40:43], 0 offset:372 ; 4-byte Folded Reload
	buffer_load_dword v31, off, s[40:43], 0 offset:376 ; 4-byte Folded Reload
	;; [unrolled: 1-line block ×4, first 2 shown]
	s_waitcnt vmcnt(0) lgkmcnt(1)
	v_mul_f64 v[24:25], v[32:33], v[16:17]
	v_mul_f64 v[26:27], v[32:33], v[14:15]
	global_store_dwordx4 v[28:29], v[2:5], off
	v_add_co_u32_e32 v28, vcc, s6, v28
	v_mul_f64 v[2:3], v[18:19], s[2:3]
	ds_read_b128 v[18:21], v212 offset:20832
	v_mul_f64 v[4:5], v[22:23], s[2:3]
	v_fma_f64 v[22:23], v[30:31], v[14:15], v[24:25]
	v_fma_f64 v[24:25], v[30:31], v[16:17], -v[26:27]
	ds_read_b128 v[14:17], v212 offset:21840
	buffer_load_dword v32, off, s[40:43], 0 offset:164 ; 4-byte Folded Reload
	buffer_load_dword v33, off, s[40:43], 0 offset:168 ; 4-byte Folded Reload
	;; [unrolled: 1-line block ×4, first 2 shown]
	v_addc_co_u32_e32 v29, vcc, v29, v0, vcc
	global_store_dwordx4 v[28:29], v[2:5], off
	s_nop 0
	v_mul_f64 v[2:3], v[22:23], s[2:3]
	v_mul_f64 v[4:5], v[24:25], s[2:3]
	s_waitcnt vmcnt(1) lgkmcnt(1)
	v_mul_f64 v[26:27], v[34:35], v[20:21]
	v_mul_f64 v[30:31], v[34:35], v[18:19]
	v_fma_f64 v[18:19], v[32:33], v[18:19], v[26:27]
	v_fma_f64 v[20:21], v[32:33], v[20:21], -v[30:31]
	buffer_load_dword v30, off, s[40:43], 0 offset:228 ; 4-byte Folded Reload
	buffer_load_dword v31, off, s[40:43], 0 offset:232 ; 4-byte Folded Reload
	buffer_load_dword v32, off, s[40:43], 0 offset:236 ; 4-byte Folded Reload
	buffer_load_dword v33, off, s[40:43], 0 offset:240 ; 4-byte Folded Reload
	v_add_co_u32_e32 v26, vcc, s4, v28
	v_addc_co_u32_e32 v27, vcc, v29, v1, vcc
	global_store_dwordx4 v[26:27], v[2:5], off
	s_waitcnt vmcnt(1)
	v_mul_f64 v[22:23], v[32:33], v[12:13]
	v_mul_f64 v[24:25], v[32:33], v[10:11]
	;; [unrolled: 1-line block ×4, first 2 shown]
	v_fma_f64 v[10:11], v[30:31], v[10:11], v[22:23]
	v_fma_f64 v[12:13], v[30:31], v[12:13], -v[24:25]
	buffer_load_dword v28, off, s[40:43], 0 offset:340 ; 4-byte Folded Reload
	buffer_load_dword v29, off, s[40:43], 0 offset:344 ; 4-byte Folded Reload
	;; [unrolled: 1-line block ×4, first 2 shown]
	v_add_co_u32_e32 v22, vcc, s4, v26
	v_addc_co_u32_e32 v23, vcc, v27, v1, vcc
	global_store_dwordx4 v[22:23], v[2:5], off
	buffer_load_dword v24, off, s[40:43], 0 offset:324 ; 4-byte Folded Reload
	buffer_load_dword v25, off, s[40:43], 0 offset:328 ; 4-byte Folded Reload
	;; [unrolled: 1-line block ×4, first 2 shown]
	v_mul_f64 v[2:3], v[10:11], s[2:3]
	v_mul_f64 v[4:5], v[12:13], s[2:3]
	s_waitcnt vmcnt(5)
	v_mul_f64 v[18:19], v[30:31], v[8:9]
	v_mul_f64 v[20:21], v[30:31], v[6:7]
	s_waitcnt vmcnt(0) lgkmcnt(0)
	v_mul_f64 v[12:13], v[26:27], v[16:17]
	v_fma_f64 v[6:7], v[28:29], v[6:7], v[18:19]
	v_fma_f64 v[10:11], v[28:29], v[8:9], -v[20:21]
	v_add_co_u32_e32 v20, vcc, s6, v22
	v_addc_co_u32_e32 v21, vcc, v23, v0, vcc
	global_store_dwordx4 v[20:21], v[2:5], off
	v_mul_f64 v[18:19], v[26:27], v[14:15]
	v_mul_f64 v[2:3], v[6:7], s[2:3]
	ds_read_b128 v[6:9], v212 offset:6048
	v_mul_f64 v[4:5], v[10:11], s[2:3]
	v_fma_f64 v[14:15], v[24:25], v[14:15], v[12:13]
	ds_read_b128 v[10:13], v212 offset:7056
	buffer_load_dword v26, off, s[40:43], 0 offset:132 ; 4-byte Folded Reload
	buffer_load_dword v27, off, s[40:43], 0 offset:136 ; 4-byte Folded Reload
	;; [unrolled: 1-line block ×4, first 2 shown]
	v_add_co_u32_e32 v20, vcc, s4, v20
	v_fma_f64 v[18:19], v[24:25], v[16:17], -v[18:19]
	v_addc_co_u32_e32 v21, vcc, v21, v1, vcc
	global_store_dwordx4 v[20:21], v[2:5], off
	s_waitcnt vmcnt(1) lgkmcnt(1)
	v_mul_f64 v[22:23], v[28:29], v[8:9]
	v_mul_f64 v[24:25], v[28:29], v[6:7]
	;; [unrolled: 1-line block ×3, first 2 shown]
	ds_read_b128 v[14:17], v212 offset:14448
	v_mul_f64 v[4:5], v[18:19], s[2:3]
	v_add_co_u32_e32 v28, vcc, s4, v20
	v_addc_co_u32_e32 v29, vcc, v21, v1, vcc
	v_fma_f64 v[18:19], v[26:27], v[6:7], v[22:23]
	v_fma_f64 v[22:23], v[26:27], v[8:9], -v[24:25]
	ds_read_b128 v[6:9], v212 offset:15456
	buffer_load_dword v30, off, s[40:43], 0 offset:100 ; 4-byte Folded Reload
	buffer_load_dword v31, off, s[40:43], 0 offset:104 ; 4-byte Folded Reload
	;; [unrolled: 1-line block ×4, first 2 shown]
	s_waitcnt vmcnt(0) lgkmcnt(1)
	v_mul_f64 v[24:25], v[32:33], v[16:17]
	v_mul_f64 v[26:27], v[32:33], v[14:15]
	global_store_dwordx4 v[28:29], v[2:5], off
	v_add_co_u32_e32 v28, vcc, s6, v28
	v_mul_f64 v[2:3], v[18:19], s[2:3]
	ds_read_b128 v[18:21], v212 offset:22848
	v_mul_f64 v[4:5], v[22:23], s[2:3]
	v_fma_f64 v[22:23], v[30:31], v[14:15], v[24:25]
	v_fma_f64 v[24:25], v[30:31], v[16:17], -v[26:27]
	ds_read_b128 v[14:17], v212 offset:23856
	buffer_load_dword v32, off, s[40:43], 0 offset:52 ; 4-byte Folded Reload
	buffer_load_dword v33, off, s[40:43], 0 offset:56 ; 4-byte Folded Reload
	;; [unrolled: 1-line block ×4, first 2 shown]
	v_addc_co_u32_e32 v29, vcc, v29, v0, vcc
	global_store_dwordx4 v[28:29], v[2:5], off
	s_nop 0
	v_mul_f64 v[2:3], v[22:23], s[2:3]
	v_mul_f64 v[4:5], v[24:25], s[2:3]
	s_waitcnt vmcnt(1) lgkmcnt(1)
	v_mul_f64 v[26:27], v[34:35], v[20:21]
	v_mul_f64 v[30:31], v[34:35], v[18:19]
	v_fma_f64 v[18:19], v[32:33], v[18:19], v[26:27]
	v_fma_f64 v[20:21], v[32:33], v[20:21], -v[30:31]
	buffer_load_dword v30, off, s[40:43], 0 offset:180 ; 4-byte Folded Reload
	buffer_load_dword v31, off, s[40:43], 0 offset:184 ; 4-byte Folded Reload
	;; [unrolled: 1-line block ×4, first 2 shown]
	v_add_co_u32_e32 v26, vcc, s4, v28
	v_addc_co_u32_e32 v27, vcc, v29, v1, vcc
	global_store_dwordx4 v[26:27], v[2:5], off
	v_add_co_u32_e32 v26, vcc, s4, v26
	v_mul_f64 v[2:3], v[18:19], s[2:3]
	v_mul_f64 v[4:5], v[20:21], s[2:3]
	v_addc_co_u32_e32 v27, vcc, v27, v1, vcc
	s_waitcnt vmcnt(1)
	v_mul_f64 v[22:23], v[32:33], v[12:13]
	v_mul_f64 v[24:25], v[32:33], v[10:11]
	v_fma_f64 v[10:11], v[30:31], v[10:11], v[22:23]
	v_fma_f64 v[12:13], v[30:31], v[12:13], -v[24:25]
	buffer_load_dword v28, off, s[40:43], 0 offset:196 ; 4-byte Folded Reload
	buffer_load_dword v29, off, s[40:43], 0 offset:200 ; 4-byte Folded Reload
	;; [unrolled: 1-line block ×4, first 2 shown]
	s_waitcnt vmcnt(0)
	v_mul_f64 v[18:19], v[30:31], v[8:9]
	v_mul_f64 v[20:21], v[30:31], v[6:7]
	buffer_load_dword v30, off, s[40:43], 0 offset:260 ; 4-byte Folded Reload
	buffer_load_dword v31, off, s[40:43], 0 offset:264 ; 4-byte Folded Reload
	;; [unrolled: 1-line block ×4, first 2 shown]
	v_fma_f64 v[6:7], v[28:29], v[6:7], v[18:19]
	global_store_dwordx4 v[26:27], v[2:5], off
	v_fma_f64 v[8:9], v[28:29], v[8:9], -v[20:21]
	v_mul_f64 v[2:3], v[10:11], s[2:3]
	v_mul_f64 v[4:5], v[12:13], s[2:3]
	;; [unrolled: 1-line block ×4, first 2 shown]
	s_waitcnt vmcnt(1) lgkmcnt(0)
	v_mul_f64 v[22:23], v[32:33], v[16:17]
	v_mul_f64 v[24:25], v[32:33], v[14:15]
	v_fma_f64 v[10:11], v[30:31], v[14:15], v[22:23]
	v_fma_f64 v[12:13], v[30:31], v[16:17], -v[24:25]
	v_add_co_u32_e32 v14, vcc, s6, v26
	v_addc_co_u32_e32 v15, vcc, v27, v0, vcc
	global_store_dwordx4 v[14:15], v[2:5], off
	s_nop 0
	v_mul_f64 v[2:3], v[10:11], s[2:3]
	v_mul_f64 v[4:5], v[12:13], s[2:3]
	v_add_co_u32_e32 v10, vcc, s4, v14
	v_addc_co_u32_e32 v11, vcc, v15, v1, vcc
	v_add_co_u32_e32 v0, vcc, s4, v10
	v_addc_co_u32_e32 v1, vcc, v11, v1, vcc
	global_store_dwordx4 v[10:11], v[6:9], off
	global_store_dwordx4 v[0:1], v[2:5], off
	s_and_b64 exec, exec, s[0:1]
	s_cbranch_execz .LBB0_31
; %bb.30:
	buffer_load_dword v16, off, s[40:43], 0 ; 4-byte Folded Reload
	buffer_load_dword v17, off, s[40:43], 0 offset:20 ; 4-byte Folded Reload
	s_movk_i32 s0, 0x4000
	s_waitcnt vmcnt(1)
	v_add_co_u32_e32 v2, vcc, 0x1000, v16
	s_waitcnt vmcnt(0)
	v_addc_co_u32_e32 v3, vcc, 0, v17, vcc
	global_load_dwordx4 v[2:5], v[2:3], off offset:3968
	ds_read_b128 v[6:9], v212 offset:8064
	ds_read_b128 v[10:13], v212 offset:16464
	s_waitcnt vmcnt(0) lgkmcnt(1)
	v_mul_f64 v[14:15], v[8:9], v[4:5]
	v_mul_f64 v[4:5], v[6:7], v[4:5]
	v_fma_f64 v[6:7], v[6:7], v[2:3], v[14:15]
	v_fma_f64 v[4:5], v[2:3], v[8:9], -v[4:5]
	v_mov_b32_e32 v8, s7
	v_mul_f64 v[2:3], v[6:7], s[2:3]
	v_mul_f64 v[4:5], v[4:5], s[2:3]
	v_add_co_u32_e32 v6, vcc, s6, v0
	v_addc_co_u32_e32 v7, vcc, v1, v8, vcc
	v_add_co_u32_e32 v0, vcc, s0, v16
	v_addc_co_u32_e32 v1, vcc, 0, v17, vcc
	global_store_dwordx4 v[6:7], v[2:5], off
	global_load_dwordx4 v[0:3], v[0:1], off offset:80
	s_movk_i32 s0, 0x6000
	s_waitcnt vmcnt(0) lgkmcnt(0)
	v_mul_f64 v[4:5], v[12:13], v[2:3]
	v_mul_f64 v[2:3], v[10:11], v[2:3]
	v_fma_f64 v[4:5], v[10:11], v[0:1], v[4:5]
	v_fma_f64 v[2:3], v[0:1], v[12:13], -v[2:3]
	v_mov_b32_e32 v12, s5
	v_mul_f64 v[0:1], v[4:5], s[2:3]
	v_mul_f64 v[2:3], v[2:3], s[2:3]
	v_add_co_u32_e32 v4, vcc, s0, v16
	v_addc_co_u32_e32 v5, vcc, 0, v17, vcc
	v_add_co_u32_e32 v8, vcc, s4, v6
	v_addc_co_u32_e32 v9, vcc, v7, v12, vcc
	global_store_dwordx4 v[8:9], v[0:3], off
	global_load_dwordx4 v[0:3], v[4:5], off offset:288
	ds_read_b128 v[4:7], v212 offset:24864
	s_waitcnt vmcnt(0) lgkmcnt(0)
	v_mul_f64 v[10:11], v[6:7], v[2:3]
	v_mul_f64 v[2:3], v[4:5], v[2:3]
	v_fma_f64 v[4:5], v[4:5], v[0:1], v[10:11]
	v_fma_f64 v[2:3], v[0:1], v[6:7], -v[2:3]
	v_mul_f64 v[0:1], v[4:5], s[2:3]
	v_mul_f64 v[2:3], v[2:3], s[2:3]
	v_add_co_u32_e32 v4, vcc, s4, v8
	v_addc_co_u32_e32 v5, vcc, v9, v12, vcc
	global_store_dwordx4 v[4:5], v[0:3], off
.LBB0_31:
	s_endpgm
	.section	.rodata,"a",@progbits
	.p2align	6, 0x0
	.amdhsa_kernel bluestein_single_fwd_len1575_dim1_dp_op_CI_CI
		.amdhsa_group_segment_fixed_size 25200
		.amdhsa_private_segment_fixed_size 1436
		.amdhsa_kernarg_size 104
		.amdhsa_user_sgpr_count 6
		.amdhsa_user_sgpr_private_segment_buffer 1
		.amdhsa_user_sgpr_dispatch_ptr 0
		.amdhsa_user_sgpr_queue_ptr 0
		.amdhsa_user_sgpr_kernarg_segment_ptr 1
		.amdhsa_user_sgpr_dispatch_id 0
		.amdhsa_user_sgpr_flat_scratch_init 0
		.amdhsa_user_sgpr_private_segment_size 0
		.amdhsa_uses_dynamic_stack 0
		.amdhsa_system_sgpr_private_segment_wavefront_offset 1
		.amdhsa_system_sgpr_workgroup_id_x 1
		.amdhsa_system_sgpr_workgroup_id_y 0
		.amdhsa_system_sgpr_workgroup_id_z 0
		.amdhsa_system_sgpr_workgroup_info 0
		.amdhsa_system_vgpr_workitem_id 0
		.amdhsa_next_free_vgpr 256
		.amdhsa_next_free_sgpr 44
		.amdhsa_reserve_vcc 1
		.amdhsa_reserve_flat_scratch 0
		.amdhsa_float_round_mode_32 0
		.amdhsa_float_round_mode_16_64 0
		.amdhsa_float_denorm_mode_32 3
		.amdhsa_float_denorm_mode_16_64 3
		.amdhsa_dx10_clamp 1
		.amdhsa_ieee_mode 1
		.amdhsa_fp16_overflow 0
		.amdhsa_exception_fp_ieee_invalid_op 0
		.amdhsa_exception_fp_denorm_src 0
		.amdhsa_exception_fp_ieee_div_zero 0
		.amdhsa_exception_fp_ieee_overflow 0
		.amdhsa_exception_fp_ieee_underflow 0
		.amdhsa_exception_fp_ieee_inexact 0
		.amdhsa_exception_int_div_zero 0
	.end_amdhsa_kernel
	.text
.Lfunc_end0:
	.size	bluestein_single_fwd_len1575_dim1_dp_op_CI_CI, .Lfunc_end0-bluestein_single_fwd_len1575_dim1_dp_op_CI_CI
                                        ; -- End function
	.section	.AMDGPU.csdata,"",@progbits
; Kernel info:
; codeLenInByte = 43712
; NumSgprs: 48
; NumVgprs: 256
; ScratchSize: 1436
; MemoryBound: 0
; FloatMode: 240
; IeeeMode: 1
; LDSByteSize: 25200 bytes/workgroup (compile time only)
; SGPRBlocks: 5
; VGPRBlocks: 63
; NumSGPRsForWavesPerEU: 48
; NumVGPRsForWavesPerEU: 256
; Occupancy: 1
; WaveLimiterHint : 1
; COMPUTE_PGM_RSRC2:SCRATCH_EN: 1
; COMPUTE_PGM_RSRC2:USER_SGPR: 6
; COMPUTE_PGM_RSRC2:TRAP_HANDLER: 0
; COMPUTE_PGM_RSRC2:TGID_X_EN: 1
; COMPUTE_PGM_RSRC2:TGID_Y_EN: 0
; COMPUTE_PGM_RSRC2:TGID_Z_EN: 0
; COMPUTE_PGM_RSRC2:TIDIG_COMP_CNT: 0
	.type	__hip_cuid_9af41f1a26e0895c,@object ; @__hip_cuid_9af41f1a26e0895c
	.section	.bss,"aw",@nobits
	.globl	__hip_cuid_9af41f1a26e0895c
__hip_cuid_9af41f1a26e0895c:
	.byte	0                               ; 0x0
	.size	__hip_cuid_9af41f1a26e0895c, 1

	.ident	"AMD clang version 19.0.0git (https://github.com/RadeonOpenCompute/llvm-project roc-6.4.0 25133 c7fe45cf4b819c5991fe208aaa96edf142730f1d)"
	.section	".note.GNU-stack","",@progbits
	.addrsig
	.addrsig_sym __hip_cuid_9af41f1a26e0895c
	.amdgpu_metadata
---
amdhsa.kernels:
  - .args:
      - .actual_access:  read_only
        .address_space:  global
        .offset:         0
        .size:           8
        .value_kind:     global_buffer
      - .actual_access:  read_only
        .address_space:  global
        .offset:         8
        .size:           8
        .value_kind:     global_buffer
      - .actual_access:  read_only
        .address_space:  global
        .offset:         16
        .size:           8
        .value_kind:     global_buffer
      - .actual_access:  read_only
        .address_space:  global
        .offset:         24
        .size:           8
        .value_kind:     global_buffer
      - .actual_access:  read_only
        .address_space:  global
        .offset:         32
        .size:           8
        .value_kind:     global_buffer
      - .offset:         40
        .size:           8
        .value_kind:     by_value
      - .address_space:  global
        .offset:         48
        .size:           8
        .value_kind:     global_buffer
      - .address_space:  global
        .offset:         56
        .size:           8
        .value_kind:     global_buffer
      - .address_space:  global
        .offset:         64
        .size:           8
        .value_kind:     global_buffer
      - .address_space:  global
        .offset:         72
        .size:           8
        .value_kind:     global_buffer
      - .offset:         80
        .size:           4
        .value_kind:     by_value
      - .address_space:  global
        .offset:         88
        .size:           8
        .value_kind:     global_buffer
      - .address_space:  global
        .offset:         96
        .size:           8
        .value_kind:     global_buffer
    .group_segment_fixed_size: 25200
    .kernarg_segment_align: 8
    .kernarg_segment_size: 104
    .language:       OpenCL C
    .language_version:
      - 2
      - 0
    .max_flat_workgroup_size: 63
    .name:           bluestein_single_fwd_len1575_dim1_dp_op_CI_CI
    .private_segment_fixed_size: 1436
    .sgpr_count:     48
    .sgpr_spill_count: 0
    .symbol:         bluestein_single_fwd_len1575_dim1_dp_op_CI_CI.kd
    .uniform_work_group_size: 1
    .uses_dynamic_stack: false
    .vgpr_count:     256
    .vgpr_spill_count: 362
    .wavefront_size: 64
amdhsa.target:   amdgcn-amd-amdhsa--gfx906
amdhsa.version:
  - 1
  - 2
...

	.end_amdgpu_metadata
